;; amdgpu-corpus repo=ROCm/rocFFT kind=compiled arch=gfx950 opt=O3
	.text
	.amdgcn_target "amdgcn-amd-amdhsa--gfx950"
	.amdhsa_code_object_version 6
	.protected	fft_rtc_back_len240_factors_2_2_10_3_2_wgs_180_tpt_20_dim3_sp_ip_CI_sbcc_twdbase8_3step_dirReg_intrinsicReadWrite ; -- Begin function fft_rtc_back_len240_factors_2_2_10_3_2_wgs_180_tpt_20_dim3_sp_ip_CI_sbcc_twdbase8_3step_dirReg_intrinsicReadWrite
	.globl	fft_rtc_back_len240_factors_2_2_10_3_2_wgs_180_tpt_20_dim3_sp_ip_CI_sbcc_twdbase8_3step_dirReg_intrinsicReadWrite
	.p2align	8
	.type	fft_rtc_back_len240_factors_2_2_10_3_2_wgs_180_tpt_20_dim3_sp_ip_CI_sbcc_twdbase8_3step_dirReg_intrinsicReadWrite,@function
fft_rtc_back_len240_factors_2_2_10_3_2_wgs_180_tpt_20_dim3_sp_ip_CI_sbcc_twdbase8_3step_dirReg_intrinsicReadWrite: ; @fft_rtc_back_len240_factors_2_2_10_3_2_wgs_180_tpt_20_dim3_sp_ip_CI_sbcc_twdbase8_3step_dirReg_intrinsicReadWrite
; %bb.0:
	s_load_dwordx4 s[4:7], s[0:1], 0x10
	s_mov_b32 s3, 0
	s_waitcnt lgkmcnt(0)
	s_load_dwordx2 s[10:11], s[4:5], 0x8
	s_waitcnt lgkmcnt(0)
	s_add_u32 s8, s10, -1
	s_addc_u32 s9, s11, -1
	s_add_u32 s12, 0, 0x71c4fc00
	s_addc_u32 s13, 0, 0x7c
	s_mul_hi_u32 s15, s12, -9
	s_add_i32 s13, s13, 0x1c71c6a0
	s_sub_i32 s15, s15, s12
	s_mul_i32 s18, s13, -9
	s_mul_i32 s14, s12, -9
	s_add_i32 s15, s15, s18
	s_mul_hi_u32 s16, s13, s14
	s_mul_i32 s17, s13, s14
	s_mul_i32 s19, s12, s15
	s_mul_hi_u32 s14, s12, s14
	s_mul_hi_u32 s18, s12, s15
	s_add_u32 s14, s14, s19
	s_addc_u32 s18, 0, s18
	s_add_u32 s14, s14, s17
	s_mul_hi_u32 s19, s13, s15
	s_addc_u32 s14, s18, s16
	s_addc_u32 s16, s19, 0
	s_mul_i32 s15, s13, s15
	s_add_u32 s14, s14, s15
	v_mov_b32_e32 v1, s14
	s_addc_u32 s15, 0, s16
	v_add_co_u32_e32 v1, vcc, s12, v1
	s_cmp_lg_u64 vcc, 0
	s_addc_u32 s12, s13, s15
	v_readfirstlane_b32 s15, v1
	s_mul_i32 s14, s8, s12
	s_mul_hi_u32 s16, s8, s15
	s_mul_hi_u32 s13, s8, s12
	s_add_u32 s14, s16, s14
	s_addc_u32 s13, 0, s13
	s_mul_hi_u32 s17, s9, s15
	s_mul_i32 s15, s9, s15
	s_add_u32 s14, s14, s15
	s_mul_hi_u32 s16, s9, s12
	s_addc_u32 s13, s13, s17
	s_addc_u32 s14, s16, 0
	s_mul_i32 s12, s9, s12
	s_add_u32 s12, s13, s12
	s_addc_u32 s13, 0, s14
	s_add_u32 s14, s12, 1
	s_addc_u32 s15, s13, 0
	s_add_u32 s16, s12, 2
	s_mul_i32 s18, s13, 9
	s_mul_hi_u32 s19, s12, 9
	s_addc_u32 s17, s13, 0
	s_add_i32 s19, s19, s18
	s_mul_i32 s18, s12, 9
	v_mov_b32_e32 v1, s18
	v_sub_co_u32_e32 v1, vcc, s8, v1
	s_cmp_lg_u64 vcc, 0
	s_subb_u32 s8, s9, s19
	v_subrev_co_u32_e32 v2, vcc, 9, v1
	s_cmp_lg_u64 vcc, 0
	s_subb_u32 s9, s8, 0
	v_readfirstlane_b32 s18, v2
	s_cmp_gt_u32 s18, 8
	s_cselect_b32 s18, -1, 0
	s_cmp_eq_u32 s9, 0
	s_cselect_b32 s9, s18, -1
	s_cmp_lg_u32 s9, 0
	s_cselect_b32 s9, s16, s14
	s_cselect_b32 s14, s17, s15
	v_readfirstlane_b32 s15, v1
	s_cmp_gt_u32 s15, 8
	s_cselect_b32 s15, -1, 0
	s_cmp_eq_u32 s8, 0
	s_cselect_b32 s8, s15, -1
	s_cmp_lg_u32 s8, 0
	s_cselect_b32 s9, s9, s12
	s_cselect_b32 s8, s14, s13
	s_add_u32 s12, s9, 1
	s_addc_u32 s13, s8, 0
	v_mov_b64_e32 v[2:3], s[12:13]
	v_cmp_lt_u64_e32 vcc, s[2:3], v[2:3]
	s_mov_b64 s[16:17], 0
	s_cbranch_vccnz .LBB0_2
; %bb.1:
	v_cvt_f32_u32_e32 v1, s12
	s_sub_i32 s8, 0, s12
	s_mov_b32 s17, s3
	v_rcp_iflag_f32_e32 v1, v1
	s_nop 0
	v_mul_f32_e32 v1, 0x4f7ffffe, v1
	v_cvt_u32_f32_e32 v1, v1
	s_nop 0
	v_readfirstlane_b32 s9, v1
	s_mul_i32 s8, s8, s9
	s_mul_hi_u32 s8, s9, s8
	s_add_i32 s9, s9, s8
	s_mul_hi_u32 s8, s2, s9
	s_mul_i32 s14, s8, s12
	s_sub_i32 s14, s2, s14
	s_add_i32 s9, s8, 1
	s_sub_i32 s15, s14, s12
	s_cmp_ge_u32 s14, s12
	s_cselect_b32 s8, s9, s8
	s_cselect_b32 s14, s15, s14
	s_add_i32 s9, s8, 1
	s_cmp_ge_u32 s14, s12
	s_cselect_b32 s16, s9, s8
.LBB0_2:
	s_load_dwordx2 s[8:9], s[4:5], 0x10
	s_load_dwordx2 s[14:15], s[6:7], 0x8
	s_mov_b64 s[18:19], s[16:17]
	s_waitcnt lgkmcnt(0)
	v_mov_b64_e32 v[2:3], s[8:9]
	v_cmp_lt_u64_e32 vcc, s[16:17], v[2:3]
	s_cbranch_vccnz .LBB0_4
; %bb.3:
	v_cvt_f32_u32_e32 v1, s8
	s_sub_i32 s4, 0, s8
	v_rcp_iflag_f32_e32 v1, v1
	s_nop 0
	v_mul_f32_e32 v1, 0x4f7ffffe, v1
	v_cvt_u32_f32_e32 v1, v1
	s_nop 0
	v_readfirstlane_b32 s5, v1
	s_mul_i32 s4, s4, s5
	s_mul_hi_u32 s4, s5, s4
	s_add_i32 s5, s5, s4
	s_mul_hi_u32 s4, s16, s5
	s_mul_i32 s4, s4, s8
	s_sub_i32 s4, s16, s4
	s_sub_i32 s5, s4, s8
	s_cmp_ge_u32 s4, s8
	s_cselect_b32 s4, s5, s4
	s_sub_i32 s5, s4, s8
	s_cmp_ge_u32 s4, s8
	s_cselect_b32 s18, s5, s4
.LBB0_4:
	s_mul_i32 s15, s8, s13
	s_mul_hi_u32 s17, s8, s12
	s_add_i32 s15, s17, s15
	s_mul_i32 s9, s9, s12
	s_load_dwordx2 s[4:5], s[0:1], 0x50
	s_add_i32 s23, s15, s9
	s_mul_i32 s22, s8, s12
	s_load_dwordx2 s[8:9], s[6:7], 0x0
	s_load_dwordx2 s[20:21], s[6:7], 0x10
	v_mov_b64_e32 v[2:3], s[22:23]
	v_cmp_lt_u64_e32 vcc, s[2:3], v[2:3]
	s_mov_b64 s[24:25], 0
	s_cbranch_vccnz .LBB0_6
; %bb.5:
	v_cvt_f32_u32_e32 v1, s22
	s_sub_i32 s3, 0, s22
	v_rcp_iflag_f32_e32 v1, v1
	s_nop 0
	v_mul_f32_e32 v1, 0x4f7ffffe, v1
	v_cvt_u32_f32_e32 v1, v1
	s_waitcnt lgkmcnt(0)
	v_readfirstlane_b32 s9, v1
	s_mul_i32 s3, s3, s9
	s_mul_hi_u32 s3, s9, s3
	s_add_i32 s9, s9, s3
	s_mul_hi_u32 s3, s2, s9
	s_mul_i32 s15, s3, s22
	s_sub_i32 s15, s2, s15
	s_add_i32 s9, s3, 1
	s_sub_i32 s17, s15, s22
	s_cmp_ge_u32 s15, s22
	s_cselect_b32 s3, s9, s3
	s_cselect_b32 s15, s17, s15
	s_add_i32 s9, s3, 1
	s_cmp_ge_u32 s15, s22
	s_cselect_b32 s24, s9, s3
.LBB0_6:
	s_mul_i32 s3, s16, s13
	s_waitcnt lgkmcnt(0)
	s_mul_hi_u32 s9, s16, s12
	s_add_i32 s9, s9, s3
	s_mul_i32 s3, s16, s12
	s_sub_u32 s12, s2, s3
	s_subb_u32 s2, 0, s9
	s_mul_i32 s13, s2, 9
	s_mul_hi_u32 s2, s12, 9
	s_add_i32 s15, s2, s13
	s_load_dwordx2 s[2:3], s[6:7], 0x18
	v_mul_u32_u24_e32 v1, 0x1c72, v0
	s_mul_i32 s6, s12, 9
	v_lshrrev_b32_e32 v64, 16, v1
	s_waitcnt lgkmcnt(0)
	s_mul_i32 s3, s14, s6
	s_mul_i32 s7, s20, s18
	v_mul_lo_u16_e32 v1, 9, v64
	s_add_u32 s3, s7, s3
	s_mul_i32 s2, s2, s24
	v_sub_u16_e32 v2, v0, v1
	v_mov_b32_e32 v3, 0
	s_add_u32 s9, s2, s3
	v_mad_u64_u32 v[56:57], s[2:3], s12, 9, v[2:3]
	s_add_u32 s2, s6, 9
	s_addc_u32 s3, s15, 0
	v_mov_b64_e32 v[4:5], s[10:11]
	v_add_u32_e32 v57, s13, v57
	v_cmp_le_u64_e32 vcc, s[2:3], v[4:5]
	v_mad_u64_u32 v[54:55], s[2:3], s14, v2, 0
	v_cmp_gt_u64_e64 s[2:3], s[10:11], v[56:57]
	s_or_b64 s[6:7], vcc, s[2:3]
	v_mov_b32_e32 v4, 0
	v_mov_b32_e32 v5, 0
	s_and_saveexec_b64 s[2:3], s[6:7]
	s_cbranch_execz .LBB0_8
; %bb.7:
	v_mul_lo_u32 v1, s8, v64
	v_add3_u32 v4, s9, v54, v1
	v_mov_b32_e32 v5, v3
	v_lshl_add_u64 v[4:5], v[4:5], 3, s[4:5]
	global_load_dwordx2 v[4:5], v[4:5], off
.LBB0_8:
	s_or_b64 exec, exec, s[2:3]
	v_mov_b32_e32 v7, 0
	s_and_saveexec_b64 s[2:3], s[6:7]
	s_cbranch_execz .LBB0_10
; %bb.9:
	v_add_u32_e32 v1, 0x78, v64
	v_mul_lo_u32 v1, s8, v1
	v_add3_u32 v6, s9, v54, v1
	v_mov_b32_e32 v7, 0
	v_lshl_add_u64 v[6:7], v[6:7], 3, s[4:5]
	global_load_dwordx2 v[6:7], v[6:7], off
	s_waitcnt vmcnt(0)
	v_mov_b32_e32 v3, v6
.LBB0_10:
	s_or_b64 exec, exec, s[2:3]
	v_add_u32_e32 v55, 20, v64
	v_mov_b32_e32 v10, 0
	v_mov_b32_e32 v8, 0
	;; [unrolled: 1-line block ×3, first 2 shown]
	s_and_saveexec_b64 s[2:3], s[6:7]
	s_cbranch_execz .LBB0_12
; %bb.11:
	v_mul_lo_u32 v1, s8, v55
	v_add3_u32 v8, s9, v54, v1
	v_mov_b32_e32 v9, 0
	v_lshl_add_u64 v[8:9], v[8:9], 3, s[4:5]
	global_load_dwordx2 v[8:9], v[8:9], off
.LBB0_12:
	s_or_b64 exec, exec, s[2:3]
	v_mov_b32_e32 v11, 0
	s_and_saveexec_b64 s[2:3], s[6:7]
	s_cbranch_execz .LBB0_14
; %bb.13:
	v_add_u32_e32 v1, 0x8c, v64
	v_mul_lo_u32 v1, s8, v1
	v_add3_u32 v10, s9, v54, v1
	v_mov_b32_e32 v11, 0
	v_lshl_add_u64 v[10:11], v[10:11], 3, s[4:5]
	global_load_dwordx2 v[10:11], v[10:11], off
.LBB0_14:
	s_or_b64 exec, exec, s[2:3]
	v_add_u32_e32 v57, 40, v64
	v_mov_b32_e32 v14, 0
	v_mov_b32_e32 v12, 0
	;; [unrolled: 1-line block ×3, first 2 shown]
	s_and_saveexec_b64 s[2:3], s[6:7]
	s_cbranch_execz .LBB0_16
; %bb.15:
	v_mul_lo_u32 v1, s8, v57
	v_add3_u32 v12, s9, v54, v1
	v_mov_b32_e32 v13, 0
	v_lshl_add_u64 v[12:13], v[12:13], 3, s[4:5]
	global_load_dwordx2 v[12:13], v[12:13], off
.LBB0_16:
	s_or_b64 exec, exec, s[2:3]
	v_mov_b32_e32 v15, 0
	s_and_saveexec_b64 s[2:3], s[6:7]
	s_cbranch_execz .LBB0_18
; %bb.17:
	v_or_b32_e32 v1, 0xa0, v64
	v_mul_lo_u32 v1, s8, v1
	v_add3_u32 v14, s9, v54, v1
	v_mov_b32_e32 v15, 0
	v_lshl_add_u64 v[14:15], v[14:15], 3, s[4:5]
	global_load_dwordx2 v[14:15], v[14:15], off
.LBB0_18:
	s_or_b64 exec, exec, s[2:3]
	v_add_u32_e32 v65, 60, v64
	v_mov_b32_e32 v18, 0
	v_mov_b32_e32 v16, 0
	;; [unrolled: 1-line block ×3, first 2 shown]
	s_and_saveexec_b64 s[2:3], s[6:7]
	s_cbranch_execz .LBB0_20
; %bb.19:
	v_mul_lo_u32 v1, s8, v65
	v_add3_u32 v16, s9, v54, v1
	v_mov_b32_e32 v17, 0
	v_lshl_add_u64 v[16:17], v[16:17], 3, s[4:5]
	global_load_dwordx2 v[16:17], v[16:17], off
.LBB0_20:
	s_or_b64 exec, exec, s[2:3]
	v_mov_b32_e32 v19, 0
	s_and_saveexec_b64 s[2:3], s[6:7]
	s_cbranch_execz .LBB0_22
; %bb.21:
	v_add_u32_e32 v1, 0xb4, v64
	v_mul_lo_u32 v1, s8, v1
	v_add3_u32 v18, s9, v54, v1
	v_mov_b32_e32 v19, 0
	v_lshl_add_u64 v[18:19], v[18:19], 3, s[4:5]
	global_load_dwordx2 v[18:19], v[18:19], off
.LBB0_22:
	s_or_b64 exec, exec, s[2:3]
	v_add_u32_e32 v66, 0x50, v64
	v_mov_b32_e32 v22, 0
	v_mov_b32_e32 v20, 0
	;; [unrolled: 1-line block ×3, first 2 shown]
	s_and_saveexec_b64 s[2:3], s[6:7]
	s_cbranch_execz .LBB0_24
; %bb.23:
	v_mul_lo_u32 v1, s8, v66
	v_add3_u32 v20, s9, v54, v1
	v_mov_b32_e32 v21, 0
	v_lshl_add_u64 v[20:21], v[20:21], 3, s[4:5]
	global_load_dwordx2 v[20:21], v[20:21], off
.LBB0_24:
	s_or_b64 exec, exec, s[2:3]
	v_mov_b32_e32 v23, 0
	s_and_saveexec_b64 s[2:3], s[6:7]
	s_cbranch_execz .LBB0_26
; %bb.25:
	v_add_u32_e32 v1, 0xc8, v64
	v_mul_lo_u32 v1, s8, v1
	v_add3_u32 v22, s9, v54, v1
	v_mov_b32_e32 v23, 0
	v_lshl_add_u64 v[22:23], v[22:23], 3, s[4:5]
	global_load_dwordx2 v[22:23], v[22:23], off
.LBB0_26:
	s_or_b64 exec, exec, s[2:3]
	s_load_dwordx2 s[2:3], s[0:1], 0x0
	v_add_u32_e32 v67, 0x64, v64
	v_mov_b32_e32 v26, 0
	v_mov_b32_e32 v24, 0
	;; [unrolled: 1-line block ×3, first 2 shown]
	s_and_saveexec_b64 s[10:11], s[6:7]
	s_cbranch_execz .LBB0_28
; %bb.27:
	v_mul_lo_u32 v1, s8, v67
	v_add3_u32 v24, s9, v54, v1
	v_mov_b32_e32 v25, 0
	v_lshl_add_u64 v[24:25], v[24:25], 3, s[4:5]
	global_load_dwordx2 v[24:25], v[24:25], off
.LBB0_28:
	s_or_b64 exec, exec, s[10:11]
	v_mov_b32_e32 v27, 0
	s_and_saveexec_b64 s[10:11], s[6:7]
	s_cbranch_execz .LBB0_30
; %bb.29:
	v_add_u32_e32 v1, 0xdc, v64
	v_mul_lo_u32 v1, s8, v1
	v_add3_u32 v26, s9, v54, v1
	v_mov_b32_e32 v27, 0
	v_lshl_add_u64 v[26:27], v[26:27], 3, s[4:5]
	global_load_dwordx2 v[26:27], v[26:27], off
.LBB0_30:
	s_or_b64 exec, exec, s[10:11]
	v_mov_b32_e32 v6, v3
	s_waitcnt vmcnt(0)
	v_pk_add_f32 v[6:7], v[4:5], v[6:7] neg_lo:[0,1] neg_hi:[0,1]
	v_mul_u32_u24_e32 v1, 0x90, v64
	v_lshlrev_b32_e32 v73, 3, v2
	v_pk_add_f32 v[10:11], v[8:9], v[10:11] neg_lo:[0,1] neg_hi:[0,1]
	v_add3_u32 v28, 0, v1, v73
	v_pk_fma_f32 v[2:3], v[4:5], 2.0, v[6:7] op_sel_hi:[1,0,1] neg_lo:[0,0,1] neg_hi:[0,0,1]
	v_pk_add_f32 v[14:15], v[12:13], v[14:15] neg_lo:[0,1] neg_hi:[0,1]
	ds_write2_b64 v28, v[2:3], v[6:7] offset1:9
	v_pk_fma_f32 v[2:3], v[8:9], 2.0, v[10:11] op_sel_hi:[1,0,1] neg_lo:[0,0,1] neg_hi:[0,0,1]
	v_add_u32_e32 v1, 0x800, v28
	v_pk_add_f32 v[18:19], v[16:17], v[18:19] neg_lo:[0,1] neg_hi:[0,1]
	ds_write2_b64 v1, v[2:3], v[10:11] offset0:104 offset1:113
	v_pk_fma_f32 v[2:3], v[12:13], 2.0, v[14:15] op_sel_hi:[1,0,1] neg_lo:[0,0,1] neg_hi:[0,0,1]
	v_add_u32_e32 v1, 0x1000, v28
	v_pk_add_f32 v[22:23], v[20:21], v[22:23] neg_lo:[0,1] neg_hi:[0,1]
	ds_write2_b64 v1, v[2:3], v[14:15] offset0:208 offset1:217
	;; [unrolled: 4-line block ×3, first 2 shown]
	v_pk_fma_f32 v[2:3], v[20:21], 2.0, v[22:23] op_sel_hi:[1,0,1] neg_lo:[0,0,1] neg_hi:[0,0,1]
	v_add_u32_e32 v1, 0x2800, v28
	ds_write2_b64 v1, v[2:3], v[22:23] offset0:160 offset1:169
	v_pk_fma_f32 v[2:3], v[24:25], 2.0, v[26:27] op_sel_hi:[1,0,1] neg_lo:[0,0,1] neg_hi:[0,0,1]
	v_add_u32_e32 v1, 0x3800, v28
	v_and_b32_e32 v32, 1, v64
	ds_write2_b64 v1, v[2:3], v[26:27] offset0:8 offset1:17
	v_lshlrev_b32_e32 v1, 3, v32
	s_waitcnt lgkmcnt(0)
	s_barrier
	global_load_dwordx2 v[16:17], v1, s[2:3]
	s_movk_i32 s10, 0xffb8
	v_mul_i32_i24_e32 v4, 0xffffffb8, v66
	s_movk_i32 s14, 0x2d00
	v_lshlrev_b32_e32 v6, 1, v64
	v_lshlrev_b32_e32 v7, 1, v55
	s_movk_i32 s16, 0x7c
	v_mad_i32_i24 v68, v64, s10, v28
	v_mul_i32_i24_e32 v1, 0xffffffb8, v55
	s_movk_i32 s11, 0xb40
	v_mul_i32_i24_e32 v2, 0xffffffb8, v57
	s_movk_i32 s12, 0x1680
	;; [unrolled: 2-line block ×4, first 2 shown]
	v_and_or_b32 v6, v6, 60, v32
	v_and_or_b32 v7, v7, s16, v32
	v_add3_u32 v71, v28, s14, v4
	v_add_u32_e32 v4, 0x3800, v68
	v_add3_u32 v69, v28, s11, v1
	v_add3_u32 v70, v28, s12, v2
	;; [unrolled: 1-line block ×4, first 2 shown]
	v_mul_u32_u24_e32 v2, 0x48, v6
	v_mul_u32_u24_e32 v3, 0x48, v7
	ds_read_b64 v[18:19], v68
	ds_read_b64 v[20:21], v69
	;; [unrolled: 1-line block ×5, first 2 shown]
	ds_read2_b64 v[4:7], v4 offset0:8 offset1:188
	ds_read_b64 v[28:29], v72
	v_lshlrev_b32_e32 v8, 1, v57
	s_movk_i32 s17, 0xfc
	v_lshlrev_b32_e32 v9, 1, v65
	v_lshlrev_b32_e32 v10, 1, v66
	v_and_or_b32 v8, v8, s17, v32
	v_and_or_b32 v9, v9, s17, v32
	v_add3_u32 v34, 0, v2, v73
	v_add3_u32 v35, 0, v3, v73
	v_and_or_b32 v33, v10, s17, v32
	v_mul_u32_u24_e32 v8, 0x48, v8
	v_mul_u32_u24_e32 v9, 0x48, v9
	v_add_u32_e32 v10, 0x2000, v68
	v_add_u32_e32 v12, 0x2c00, v68
	v_add3_u32 v36, 0, v8, v73
	v_add3_u32 v37, 0, v9, v73
	ds_read2_b64 v[8:11], v10 offset0:56 offset1:236
	ds_read2_b64 v[12:15], v12 offset0:32 offset1:212
	s_waitcnt lgkmcnt(0)
	s_barrier
	s_movk_i32 s10, 0x1fc
	v_cmp_gt_u32_e32 vcc, 36, v0
                                        ; implicit-def: $vgpr60
	s_waitcnt vmcnt(0)
	v_pk_mul_f32 v[2:3], v[16:17], v[6:7] op_sel:[0,1]
	s_nop 0
	v_pk_fma_f32 v[30:31], v[16:17], v[6:7], v[2:3] op_sel:[0,0,1] op_sel_hi:[1,1,0]
	v_pk_fma_f32 v[2:3], v[16:17], v[6:7], v[2:3] op_sel:[0,0,1] op_sel_hi:[1,0,0] neg_lo:[1,0,0] neg_hi:[1,0,0]
	v_mul_u32_u24_e32 v6, 0x48, v33
	v_mov_b32_e32 v31, v3
	v_pk_add_f32 v[2:3], v[28:29], v[30:31] neg_lo:[0,1] neg_hi:[0,1]
	v_add3_u32 v30, 0, v6, v73
	v_pk_mul_f32 v[6:7], v[16:17], v[4:5] op_sel:[0,1]
	v_pk_fma_f32 v[58:59], v[28:29], 2.0, v[2:3] op_sel_hi:[1,0,1] neg_lo:[0,0,1] neg_hi:[0,0,1]
	v_pk_fma_f32 v[28:29], v[16:17], v[4:5], v[6:7] op_sel:[0,0,1] op_sel_hi:[1,1,0]
	v_pk_fma_f32 v[4:5], v[16:17], v[4:5], v[6:7] op_sel:[0,0,1] op_sel_hi:[1,0,0] neg_lo:[1,0,0] neg_hi:[1,0,0]
	s_nop 0
	v_mov_b32_e32 v29, v5
	v_pk_add_f32 v[4:5], v[26:27], v[28:29] neg_lo:[0,1] neg_hi:[0,1]
	s_nop 0
	v_pk_fma_f32 v[6:7], v[26:27], 2.0, v[4:5] op_sel_hi:[1,0,1] neg_lo:[0,0,1] neg_hi:[0,0,1]
	v_pk_mul_f32 v[26:27], v[16:17], v[14:15] op_sel:[0,1]
	s_nop 0
	v_pk_fma_f32 v[28:29], v[16:17], v[14:15], v[26:27] op_sel:[0,0,1] op_sel_hi:[1,1,0]
	v_pk_fma_f32 v[14:15], v[16:17], v[14:15], v[26:27] op_sel:[0,0,1] op_sel_hi:[1,0,0] neg_lo:[1,0,0] neg_hi:[1,0,0]
	v_pk_mul_f32 v[26:27], v[16:17], v[12:13] op_sel:[0,1]
	v_mov_b32_e32 v29, v15
	v_pk_add_f32 v[14:15], v[24:25], v[28:29] neg_lo:[0,1] neg_hi:[0,1]
	v_pk_fma_f32 v[28:29], v[16:17], v[12:13], v[26:27] op_sel:[0,0,1] op_sel_hi:[1,1,0]
	v_pk_fma_f32 v[12:13], v[16:17], v[12:13], v[26:27] op_sel:[0,0,1] op_sel_hi:[1,0,0] neg_lo:[1,0,0] neg_hi:[1,0,0]
	v_pk_mul_f32 v[26:27], v[16:17], v[10:11] op_sel:[0,1]
	v_mov_b32_e32 v29, v13
	v_pk_add_f32 v[12:13], v[22:23], v[28:29] neg_lo:[0,1] neg_hi:[0,1]
	;; [unrolled: 5-line block ×3, first 2 shown]
	v_pk_fma_f32 v[28:29], v[16:17], v[8:9], v[26:27] op_sel:[0,0,1] op_sel_hi:[1,1,0]
	v_pk_fma_f32 v[8:9], v[16:17], v[8:9], v[26:27] op_sel:[0,0,1] op_sel_hi:[1,0,0] neg_lo:[1,0,0] neg_hi:[1,0,0]
	v_pk_fma_f32 v[24:25], v[24:25], 2.0, v[14:15] op_sel_hi:[1,0,1] neg_lo:[0,0,1] neg_hi:[0,0,1]
	v_mov_b32_e32 v29, v9
	v_pk_add_f32 v[8:9], v[18:19], v[28:29] neg_lo:[0,1] neg_hi:[0,1]
	v_pk_fma_f32 v[22:23], v[22:23], 2.0, v[12:13] op_sel_hi:[1,0,1] neg_lo:[0,0,1] neg_hi:[0,0,1]
	v_pk_fma_f32 v[16:17], v[18:19], 2.0, v[8:9] op_sel_hi:[1,0,1] neg_lo:[0,0,1] neg_hi:[0,0,1]
	;; [unrolled: 1-line block ×3, first 2 shown]
	ds_write2_b64 v34, v[16:17], v[8:9] offset1:18
	ds_write2_b64 v35, v[20:21], v[10:11] offset1:18
	;; [unrolled: 1-line block ×5, first 2 shown]
	v_lshlrev_b32_e32 v4, 1, v67
	v_and_or_b32 v4, v4, s10, v32
	v_mul_u32_u24_e32 v4, 0x48, v4
	v_add3_u32 v4, 0, v4, v73
	ds_write2_b64 v4, v[58:59], v[2:3] offset1:18
	v_add_u32_e32 v4, 0xd00, v68
	s_waitcnt lgkmcnt(0)
	s_barrier
	ds_read2_b64 v[38:41], v4 offset0:16 offset1:232
	v_add_u32_e32 v4, 0x1a00, v68
	ds_read2_b64 v[42:45], v4 offset0:32 offset1:248
	v_add_u32_e32 v4, 0x2800, v68
	;; [unrolled: 2-line block ×3, first 2 shown]
	ds_read2_b64 v[34:37], v68 offset1:216
	ds_read2_b64 v[50:53], v4 offset1:216
                                        ; implicit-def: $vgpr8
                                        ; implicit-def: $vgpr12
                                        ; implicit-def: $vgpr16
	s_and_saveexec_b64 s[10:11], vcc
	s_cbranch_execz .LBB0_32
; %bb.31:
	v_add_u32_e32 v6, 0x1900, v68
	ds_read2_b64 v[14:17], v6 offset0:28 offset1:244
	v_add_u32_e32 v6, 0x2700, v68
	v_add_u32_e32 v2, 0xc00, v68
	ds_read2_b64 v[10:13], v6 offset0:12 offset1:228
	v_add_u32_e32 v6, 0x3400, v68
	ds_read2_b64 v[2:5], v2 offset0:12 offset1:228
	ds_read2_b64 v[6:9], v6 offset0:28 offset1:244
	ds_read_b64 v[58:59], v69
	ds_read_b64 v[60:61], v68 offset:16992
.LBB0_32:
	s_or_b64 exec, exec, s[10:11]
	v_and_b32_e32 v110, 3, v64
	v_mul_u32_u24_e32 v18, 9, v110
	v_lshlrev_b32_e32 v74, 3, v18
	global_load_dwordx4 v[18:21], v74, s[2:3] offset:16
	global_load_dwordx4 v[30:33], v74, s[2:3] offset:32
	;; [unrolled: 1-line block ×4, first 2 shown]
	global_load_dwordx2 v[62:63], v74, s[2:3] offset:80
	s_mov_b32 s13, 0x3f737871
	s_mov_b32 s10, 0x3e9e377a
	;; [unrolled: 1-line block ×9, first 2 shown]
	s_waitcnt lgkmcnt(0)
	s_barrier
	s_mov_b32 s20, 0xbe9e377a
	s_mov_b32 s21, s13
	;; [unrolled: 1-line block ×4, first 2 shown]
	s_waitcnt vmcnt(4)
	v_pk_mul_f32 v[74:75], v[20:21], v[38:39] op_sel:[0,1]
	s_waitcnt vmcnt(3)
	v_pk_mul_f32 v[76:77], v[32:33], v[42:43] op_sel:[0,1]
	;; [unrolled: 2-line block ×4, first 2 shown]
	v_pk_mul_f32 v[82:83], v[30:31], v[40:41] op_sel:[0,1]
	v_pk_mul_f32 v[84:85], v[26:27], v[44:45] op_sel:[0,1]
	;; [unrolled: 1-line block ×3, first 2 shown]
	s_waitcnt vmcnt(0)
	v_pk_mul_f32 v[88:89], v[52:53], v[62:63] op_sel:[0,1]
	v_pk_fma_f32 v[92:93], v[20:21], v[38:39], v[74:75] op_sel:[0,0,1] op_sel_hi:[1,1,0]
	v_pk_fma_f32 v[38:39], v[20:21], v[38:39], v[74:75] op_sel:[0,0,1] op_sel_hi:[1,0,0] neg_lo:[1,0,0] neg_hi:[1,0,0]
	v_pk_fma_f32 v[74:75], v[30:31], v[40:41], v[82:83] op_sel:[0,0,1] op_sel_hi:[1,1,0]
	v_pk_fma_f32 v[40:41], v[30:31], v[40:41], v[82:83] op_sel:[0,0,1] op_sel_hi:[1,0,0] neg_lo:[1,0,0] neg_hi:[1,0,0]
	;; [unrolled: 2-line block ×7, first 2 shown]
	v_pk_fma_f32 v[80:81], v[52:53], v[62:63], v[88:89] op_sel:[0,0,1] op_sel_hi:[1,1,0]
	v_pk_mul_f32 v[90:91], v[18:19], v[36:37] op_sel:[0,1]
	v_mov_b32_e32 v93, v39
	v_mov_b32_e32 v83, v43
	;; [unrolled: 1-line block ×8, first 2 shown]
	v_pk_fma_f32 v[52:53], v[52:53], v[62:63], v[88:89] op_sel:[0,0,1] op_sel_hi:[1,0,0] neg_lo:[0,0,1] neg_hi:[0,0,1]
	v_pk_fma_f32 v[88:89], v[18:19], v[36:37], v[90:91] op_sel:[0,0,1] op_sel_hi:[1,0,0]
	v_pk_fma_f32 v[36:37], v[18:19], v[36:37], v[90:91] op_sel:[0,0,1] op_sel_hi:[1,0,0] neg_lo:[1,0,0] neg_hi:[1,0,0]
	v_pk_add_f32 v[46:47], v[92:93], v[82:83] neg_lo:[0,1] neg_hi:[0,1]
	v_pk_add_f32 v[50:51], v[86:87], v[84:85] neg_lo:[0,1] neg_hi:[0,1]
	;; [unrolled: 1-line block ×6, first 2 shown]
	v_pk_add_f32 v[96:97], v[82:83], v[84:85]
	v_pk_add_f32 v[98:99], v[92:93], v[86:87]
	v_pk_add_f32 v[100:101], v[92:93], v[86:87] neg_lo:[0,1] neg_hi:[0,1]
	v_pk_add_f32 v[102:103], v[82:83], v[84:85] neg_lo:[0,1] neg_hi:[0,1]
	v_pk_add_f32 v[46:47], v[46:47], v[50:51]
	v_pk_add_f32 v[42:43], v[42:43], v[94:95]
	v_pk_fma_f32 v[50:51], v[96:97], 0.5, v[34:35] op_sel_hi:[1,0,1] neg_lo:[1,0,0] neg_hi:[1,0,0]
	v_pk_fma_f32 v[94:95], v[98:99], 0.5, v[34:35] op_sel_hi:[1,0,1] neg_lo:[1,0,0] neg_hi:[1,0,0]
	v_mov_b32_e32 v89, v37
	v_mov_b32_e32 v75, v41
	v_pk_fma_f32 v[96:97], v[100:101], s[14:15], v[50:51] op_sel:[1,0,0] op_sel_hi:[0,0,1] neg_lo:[1,0,0] neg_hi:[1,0,0]
	v_pk_fma_f32 v[50:51], v[100:101], s[14:15], v[50:51] op_sel:[1,0,0] op_sel_hi:[0,0,1]
	v_pk_fma_f32 v[98:99], v[102:103], s[14:15], v[94:95] op_sel:[1,0,0] op_sel_hi:[0,0,1]
	v_pk_fma_f32 v[94:95], v[102:103], s[14:15], v[94:95] op_sel:[1,0,0] op_sel_hi:[0,0,1] neg_lo:[1,0,0] neg_hi:[1,0,0]
	v_mov_b32_e32 v77, v45
	v_mov_b32_e32 v79, v49
	v_pk_add_f32 v[104:105], v[88:89], v[74:75]
	v_mov_b32_e32 v40, v39
	v_pk_fma_f32 v[50:51], v[102:103], s[12:13], v[50:51] op_sel:[1,0,0] op_sel_hi:[0,0,1]
	v_pk_fma_f32 v[96:97], v[102:103], s[12:13], v[96:97] op_sel:[1,0,0] op_sel_hi:[0,0,1] neg_lo:[1,0,0] neg_hi:[1,0,0]
	v_pk_fma_f32 v[94:95], v[100:101], s[12:13], v[94:95] op_sel:[1,0,0] op_sel_hi:[0,0,1]
	v_pk_fma_f32 v[98:99], v[100:101], s[12:13], v[98:99] op_sel:[1,0,0] op_sel_hi:[0,0,1] neg_lo:[1,0,0] neg_hi:[1,0,0]
	v_mov_b32_e32 v52, v41
	v_mov_b32_e32 v48, v45
	v_pk_add_f32 v[106:107], v[76:77], v[78:79]
	v_pk_add_f32 v[108:109], v[76:77], v[78:79] neg_lo:[0,1] neg_hi:[0,1]
	v_mov_b32_e32 v36, v91
	v_pk_add_f32 v[76:77], v[104:105], v[76:77]
	v_pk_add_f32 v[38:39], v[38:39], v[40:41]
	v_mov_b32_e32 v100, v98
	v_mov_b32_e32 v101, v95
	;; [unrolled: 1-line block ×7, first 2 shown]
	v_pk_add_f32 v[40:41], v[52:53], v[48:49] neg_lo:[0,1] neg_hi:[0,1]
	v_pk_add_f32 v[90:91], v[90:91], v[36:37]
	v_pk_fma_f32 v[96:97], v[42:43], s[10:11], v[100:101] op_sel_hi:[1,0,1]
	v_pk_fma_f32 v[42:43], v[42:43], s[10:11], v[94:95] op_sel_hi:[1,0,1]
	;; [unrolled: 1-line block ×4, first 2 shown]
	v_pk_add_f32 v[50:51], v[76:77], v[78:79]
	v_pk_add_f32 v[76:77], v[74:75], v[80:81] neg_lo:[0,1] neg_hi:[0,1]
	v_pk_add_f32 v[74:75], v[74:75], v[80:81]
	v_mov_b32_e32 v36, v41
	v_pk_add_f32 v[44:45], v[48:49], v[52:53] neg_lo:[0,1] neg_hi:[0,1]
	v_pk_add_f32 v[50:51], v[50:51], v[80:81]
	v_pk_add_f32 v[40:41], v[40:41], v[36:37]
	v_fma_f32 v80, -0.5, v107, v37
	v_fmac_f32_e32 v37, -0.5, v75
	v_mov_b32_e32 v36, v45
	v_lshrrev_b32_e32 v48, 2, v64
	v_fma_f32 v78, -0.5, v106, v88
	v_mov_b32_e32 v79, v88
	v_pk_add_f32 v[44:45], v[44:45], v[36:37]
	v_mov_b32_e32 v91, v109
	v_mul_u32_u24_e32 v48, 40, v48
	v_fmac_f32_e32 v79, -0.5, v74
	v_fmamk_f32 v36, v77, 0xbf737871, v78
	v_fmac_f32_e32 v78, 0x3f737871, v77
	v_mov_b32_e32 v39, v77
	v_fmamk_f32 v53, v76, 0x3f737871, v80
	v_fmac_f32_e32 v80, 0xbf737871, v76
	v_mov_b32_e32 v45, v76
	v_or_b32_e32 v76, v48, v110
	v_pk_mul_f32 v[48:49], v[90:91], s[10:11]
	v_fmamk_f32 v52, v109, 0x3f737871, v79
	v_fmac_f32_e32 v79, 0xbf737871, v109
	v_mov_b32_e32 v41, v108
	v_sub_f32_e32 v36, v36, v49
	v_add_f32_e32 v49, v49, v78
	v_pk_mul_f32 v[38:39], v[38:39], s[10:11]
	v_add_f32_e32 v36, v48, v36
	v_add_f32_e32 v48, v48, v49
	v_sub_f32_e32 v49, v52, v39
	v_add_f32_e32 v39, v39, v79
	v_pk_mul_f32 v[40:41], v[40:41], s[10:11]
	v_add_f32_e32 v52, v38, v49
	v_add_f32_e32 v38, v38, v39
	;; [unrolled: 1-line block ×3, first 2 shown]
	v_fmamk_f32 v75, v108, 0xbf737871, v37
	v_fmac_f32_e32 v37, 0x3f737871, v108
	v_add_f32_e32 v74, v40, v39
	v_mul_u32_u24_e32 v39, 0x48, v76
	v_pk_mul_f32 v[44:45], v[44:45], s[10:11]
	v_pk_add_f32 v[34:35], v[34:35], v[92:93]
	s_mov_b32 s14, s11
	s_mov_b32 s15, s24
	v_add3_u32 v49, 0, v39, v73
	v_add_f32_e32 v39, v45, v75
	v_sub_f32_e32 v37, v37, v45
	v_pk_add_f32 v[34:35], v[34:35], v[82:83]
	v_pk_mul_f32 v[74:75], v[74:75], s[14:15] op_sel_hi:[0,1]
	v_sub_f32_e32 v41, v80, v41
	v_add_f32_e32 v76, v44, v39
	v_add_f32_e32 v44, v44, v37
	v_pk_add_f32 v[34:35], v[34:35], v[84:85]
	v_pk_fma_f32 v[80:81], v[36:37], s[24:25], v[74:75] neg_lo:[0,0,1] neg_hi:[0,0,1]
	v_pk_fma_f32 v[36:37], v[36:37], s[24:25], v[74:75] op_sel_hi:[0,1,1]
	v_pk_add_f32 v[34:35], v[34:35], v[86:87]
	v_mov_b32_e32 v81, v37
	v_pk_add_f32 v[78:79], v[34:35], v[50:51]
	v_pk_add_f32 v[36:37], v[94:95], v[80:81]
	ds_write2_b64 v49, v[78:79], v[36:37] offset1:36
	s_mov_b32 s12, s10
	v_pk_mul_f32 v[36:37], v[76:77], s[16:17] op_sel_hi:[0,1]
	v_pk_add_f32 v[34:35], v[34:35], v[50:51] neg_lo:[0,1] neg_hi:[0,1]
	v_pk_fma_f32 v[50:51], v[52:53], s[12:13], v[36:37] neg_lo:[0,0,1] neg_hi:[0,0,1]
	v_pk_fma_f32 v[36:37], v[52:53], s[12:13], v[36:37] op_sel_hi:[0,1,1]
	v_pk_mul_f32 v[44:45], v[44:45], s[16:17] op_sel_hi:[0,1]
	v_mov_b32_e32 v51, v37
	v_pk_fma_f32 v[38:39], v[38:39], s[20:21], v[44:45] op_sel_hi:[0,1,1] neg_lo:[0,0,1] neg_hi:[0,0,1]
	v_add_f32_e32 v40, v40, v41
	v_pk_add_f32 v[36:37], v[96:97], v[50:51]
	v_pk_add_f32 v[44:45], v[42:43], v[38:39]
	ds_write2_b64 v49, v[36:37], v[44:45] offset0:72 offset1:108
	v_pk_mul_f32 v[36:37], v[40:41], s[14:15] op_sel_hi:[0,1]
	v_pk_fma_f32 v[36:37], v[48:49], s[22:23], v[36:37] op_sel_hi:[0,1,1] neg_lo:[0,0,1] neg_hi:[0,0,1]
	v_pk_add_f32 v[40:41], v[46:47], v[36:37]
	ds_write2_b64 v49, v[40:41], v[34:35] offset0:144 offset1:180
	v_pk_add_f32 v[34:35], v[94:95], v[80:81] neg_lo:[0,1] neg_hi:[0,1]
	v_pk_add_f32 v[40:41], v[96:97], v[50:51] neg_lo:[0,1] neg_hi:[0,1]
	ds_write2_b64 v49, v[34:35], v[40:41] offset0:216 offset1:252
	v_pk_add_f32 v[34:35], v[42:43], v[38:39] neg_lo:[0,1] neg_hi:[0,1]
	v_pk_add_f32 v[36:37], v[46:47], v[36:37] neg_lo:[0,1] neg_hi:[0,1]
	v_add_u32_e32 v38, 0x800, v49
	ds_write2_b64 v38, v[34:35], v[36:37] offset0:32 offset1:68
	s_and_saveexec_b64 s[18:19], vcc
	s_cbranch_execz .LBB0_34
; %bb.33:
	v_mov_b32_e32 v34, v5
	v_pk_mul_f32 v[34:35], v[34:35], v[20:21] op_sel_hi:[0,1]
	v_mov_b32_e32 v36, v17
	v_pk_mul_f32 v[36:37], v[36:37], v[32:33] op_sel_hi:[0,1]
	v_mov_b32_e32 v38, v9
	v_pk_fma_f32 v[52:53], v[4:5], v[20:21], v[34:35] op_sel:[0,0,1] op_sel_hi:[1,1,0]
	v_pk_fma_f32 v[4:5], v[4:5], v[20:21], v[34:35] op_sel:[0,0,1] op_sel_hi:[0,1,0] neg_lo:[1,0,0] neg_hi:[1,0,0]
	v_pk_mul_f32 v[38:39], v[38:39], v[24:25] op_sel_hi:[0,1]
	v_mov_b32_e32 v40, v13
	v_mov_b32_e32 v53, v5
	v_pk_fma_f32 v[4:5], v[16:17], v[32:33], v[36:37] op_sel:[0,0,1] op_sel_hi:[1,1,0]
	v_pk_fma_f32 v[16:17], v[16:17], v[32:33], v[36:37] op_sel:[0,0,1] op_sel_hi:[0,1,0] neg_lo:[1,0,0] neg_hi:[1,0,0]
	v_pk_mul_f32 v[40:41], v[40:41], v[28:29] op_sel_hi:[0,1]
	v_mov_b32_e32 v42, v15
	v_mov_b32_e32 v44, v11
	;; [unrolled: 1-line block ×5, first 2 shown]
	v_pk_fma_f32 v[16:17], v[8:9], v[24:25], v[38:39] op_sel:[0,0,1] op_sel_hi:[1,1,0]
	v_pk_fma_f32 v[8:9], v[8:9], v[24:25], v[38:39] op_sel:[0,0,1] op_sel_hi:[0,1,0] neg_lo:[1,0,0] neg_hi:[1,0,0]
	v_pk_mul_f32 v[42:43], v[42:43], v[30:31] op_sel_hi:[0,1]
	v_pk_mul_f32 v[44:45], v[44:45], v[26:27] op_sel_hi:[0,1]
	;; [unrolled: 1-line block ×4, first 2 shown]
	v_mov_b32_e32 v17, v9
	v_pk_fma_f32 v[8:9], v[12:13], v[28:29], v[40:41] op_sel:[0,0,1] op_sel_hi:[1,1,0]
	v_pk_fma_f32 v[12:13], v[12:13], v[28:29], v[40:41] op_sel:[0,0,1] op_sel_hi:[0,1,0] neg_lo:[1,0,0] neg_hi:[1,0,0]
	v_mov_b32_e32 v9, v13
	v_pk_fma_f32 v[12:13], v[14:15], v[30:31], v[42:43] op_sel:[0,0,1] op_sel_hi:[1,1,0]
	v_pk_fma_f32 v[20:21], v[10:11], v[26:27], v[44:45] op_sel:[0,0,1] op_sel_hi:[1,1,0]
	;; [unrolled: 1-line block ×4, first 2 shown]
	v_pk_fma_f32 v[14:15], v[14:15], v[30:31], v[42:43] op_sel:[0,0,1] op_sel_hi:[0,1,0] neg_lo:[1,0,0] neg_hi:[1,0,0]
	v_pk_fma_f32 v[6:7], v[6:7], v[22:23], v[48:49] op_sel:[0,0,1] op_sel_hi:[0,1,0] neg_lo:[1,0,0] neg_hi:[1,0,0]
	v_mov_b32_e32 v22, v12
	v_mov_b32_e32 v23, v24
	;; [unrolled: 1-line block ×4, first 2 shown]
	v_pk_add_f32 v[32:33], v[22:23], v[30:31] neg_lo:[0,1] neg_hi:[0,1]
	v_pk_fma_f32 v[10:11], v[10:11], v[26:27], v[44:45] op_sel:[0,0,1] op_sel_hi:[0,1,0] neg_lo:[1,0,0] neg_hi:[1,0,0]
	v_pk_fma_f32 v[26:27], v[60:61], v[62:63], v[46:47] op_sel:[0,0,1] op_sel_hi:[0,1,0] neg_lo:[1,0,0] neg_hi:[1,0,0]
	v_mov_b32_e32 v6, v33
	v_pk_add_f32 v[32:33], v[32:33], v[6:7]
	v_mov_b32_e32 v26, v15
	v_mov_b32_e32 v6, v11
	v_pk_mul_f32 v[50:51], v[2:3], v[18:19] op_sel:[1,0]
	v_mov_b32_e32 v21, v11
	v_mov_b32_e32 v29, v7
	v_pk_add_f32 v[10:11], v[26:27], v[6:7] neg_lo:[0,1] neg_hi:[0,1]
	v_pk_add_f32 v[22:23], v[30:31], v[22:23] neg_lo:[0,1] neg_hi:[0,1]
	;; [unrolled: 1-line block ×3, first 2 shown]
	v_mov_b32_e32 v13, v15
	v_mov_b32_e32 v25, v27
	v_pk_fma_f32 v[36:37], v[2:3], v[18:19], v[50:51] op_sel:[0,0,1] op_sel_hi:[0,1,0]
	v_pk_fma_f32 v[2:3], v[2:3], v[18:19], v[50:51] op_sel:[0,0,1] op_sel_hi:[0,1,0] neg_lo:[1,0,0] neg_hi:[1,0,0]
	v_mov_b32_e32 v30, v23
	v_mov_b32_e32 v26, v7
	v_pk_add_f32 v[34:35], v[20:21], v[28:29]
	v_mov_b32_e32 v37, v3
	v_pk_add_f32 v[18:19], v[12:13], v[24:25] neg_lo:[0,1] neg_hi:[0,1]
	v_mov_b32_e32 v14, v11
	v_pk_add_f32 v[22:23], v[22:23], v[30:31]
	v_pk_add_f32 v[30:31], v[12:13], v[24:25]
	;; [unrolled: 1-line block ×3, first 2 shown]
	v_pk_add_f32 v[38:39], v[20:21], v[28:29] neg_lo:[0,1] neg_hi:[0,1]
	v_pk_add_f32 v[10:11], v[10:11], v[14:15]
	v_fma_f32 v15, -0.5, v35, v3
	v_fmac_f32_e32 v3, -0.5, v31
	v_mov_b32_e32 v7, v18
	v_pk_add_f32 v[12:13], v[36:37], v[12:13]
	v_fma_f32 v34, -0.5, v34, v36
	v_mov_b32_e32 v33, v39
	v_mov_b32_e32 v35, v36
	v_fmamk_f32 v26, v38, 0x3f737871, v3
	v_pk_mul_f32 v[6:7], v[6:7], s[10:11]
	v_fmac_f32_e32 v3, 0xbf737871, v38
	v_pk_add_f32 v[12:13], v[12:13], v[20:21]
	v_fmamk_f32 v2, v19, 0x3f737871, v34
	v_pk_mul_f32 v[32:33], v[32:33], s[10:11]
	v_mov_b32_e32 v11, v38
	v_mov_b32_e32 v23, v19
	v_fmac_f32_e32 v35, -0.5, v30
	v_sub_f32_e32 v26, v26, v7
	v_add_f32_e32 v3, v7, v3
	v_fmac_f32_e32 v34, 0xbf737871, v19
	v_pk_add_f32 v[12:13], v[12:13], v[28:29]
	v_add_f32_e32 v2, v33, v2
	v_fmamk_f32 v14, v18, 0xbf737871, v15
	v_pk_mul_f32 v[10:11], v[10:11], s[10:11]
	v_pk_mul_f32 v[22:23], v[22:23], s[10:11]
	v_fmamk_f32 v30, v39, 0xbf737871, v35
	v_add_f32_e32 v26, v6, v26
	v_fmac_f32_e32 v35, 0x3f737871, v39
	v_add_f32_e32 v6, v6, v3
	v_sub_f32_e32 v3, v34, v33
	v_fmac_f32_e32 v15, 0x3f737871, v18
	v_pk_add_f32 v[12:13], v[12:13], v[24:25]
	v_pk_add_f32 v[24:25], v[4:5], v[8:9]
	v_pk_add_f32 v[28:29], v[52:53], v[16:17] neg_lo:[0,1] neg_hi:[0,1]
	s_mov_b32 s26, s13
	v_add_f32_e32 v2, v32, v2
	v_sub_f32_e32 v14, v14, v11
	v_add_f32_e32 v30, v23, v30
	v_sub_f32_e32 v23, v35, v23
	v_add_f32_e32 v32, v32, v3
	v_add_f32_e32 v3, v11, v15
	v_pk_fma_f32 v[24:25], v[24:25], 0.5, v[58:59] op_sel_hi:[1,0,1] neg_lo:[1,0,0] neg_hi:[1,0,0]
	v_pk_mul_f32 v[34:35], v[28:29], s[26:27] op_sel_hi:[1,0]
	v_pk_add_f32 v[36:37], v[4:5], v[8:9] neg_lo:[0,1] neg_hi:[0,1]
	s_mov_b32 s28, s11
	v_pk_add_f32 v[40:41], v[52:53], v[4:5] neg_lo:[0,1] neg_hi:[0,1]
	v_pk_add_f32 v[42:43], v[16:17], v[8:9] neg_lo:[0,1] neg_hi:[0,1]
	v_add_f32_e32 v14, v10, v14
	v_add_f32_e32 v10, v10, v3
	v_pk_add_f32 v[18:19], v[58:59], v[52:53]
	v_pk_mul_f32 v[38:39], v[36:37], s[28:29] op_sel_hi:[1,0]
	v_pk_add_f32 v[40:41], v[40:41], v[42:43]
	v_pk_add_f32 v[42:43], v[24:25], v[34:35] op_sel:[0,1] op_sel_hi:[1,0] neg_lo:[0,1] neg_hi:[0,1]
	v_pk_add_f32 v[24:25], v[24:25], v[34:35] op_sel:[0,1] op_sel_hi:[1,0]
	v_pk_add_f32 v[18:19], v[18:19], v[4:5]
	v_pk_add_f32 v[24:25], v[24:25], v[38:39] op_sel:[0,1] op_sel_hi:[1,0]
	v_pk_add_f32 v[34:35], v[42:43], v[38:39] op_sel:[0,1] op_sel_hi:[1,0] neg_lo:[0,1] neg_hi:[0,1]
	v_pk_mul_f32 v[10:11], v[10:11], s[14:15] op_sel_hi:[0,1]
	v_pk_add_f32 v[18:19], v[18:19], v[8:9]
	v_mov_b32_e32 v38, v34
	v_mov_b32_e32 v39, v25
	v_pk_fma_f32 v[42:43], v[32:33], s[24:25], v[10:11] neg_lo:[0,0,1] neg_hi:[0,0,1]
	v_pk_fma_f32 v[10:11], v[32:33], s[24:25], v[10:11] op_sel_hi:[0,1,1]
	v_pk_add_f32 v[18:19], v[18:19], v[16:17]
	v_pk_fma_f32 v[38:39], v[40:41], s[10:11], v[38:39] op_sel_hi:[1,0,1]
	v_mov_b32_e32 v43, v11
	v_add_f32_e32 v30, v22, v30
	v_add_f32_e32 v22, v22, v23
	v_pk_add_f32 v[20:21], v[18:19], v[12:13]
	v_pk_add_f32 v[10:11], v[38:39], v[42:43]
	v_add_u32_e32 v15, 0x3800, v68
	v_pk_add_f32 v[4:5], v[4:5], v[52:53] neg_lo:[0,1] neg_hi:[0,1]
	v_pk_add_f32 v[8:9], v[8:9], v[16:17] neg_lo:[0,1] neg_hi:[0,1]
	v_pk_mul_f32 v[6:7], v[6:7], s[16:17] op_sel_hi:[0,1]
	ds_write2_b64 v15, v[20:21], v[10:11] offset0:8 offset1:44
	v_pk_add_f32 v[4:5], v[4:5], v[8:9]
	v_pk_add_f32 v[8:9], v[52:53], v[16:17]
	v_pk_fma_f32 v[10:11], v[22:23], s[12:13], v[6:7] neg_lo:[0,0,1] neg_hi:[0,0,1]
	v_pk_fma_f32 v[6:7], v[22:23], s[12:13], v[6:7] op_sel_hi:[0,1,1]
	v_pk_fma_f32 v[8:9], v[8:9], 0.5, v[58:59] op_sel_hi:[1,0,1] neg_lo:[1,0,0] neg_hi:[1,0,0]
	v_mov_b32_e32 v11, v7
	v_pk_mul_f32 v[6:7], v[36:37], s[26:27] op_sel_hi:[1,0]
	v_pk_mul_f32 v[16:17], v[28:29], s[28:29] op_sel_hi:[1,0]
	v_pk_add_f32 v[20:21], v[8:9], v[6:7] op_sel:[0,1] op_sel_hi:[1,0]
	v_pk_add_f32 v[6:7], v[8:9], v[6:7] op_sel:[0,1] op_sel_hi:[1,0] neg_lo:[0,1] neg_hi:[0,1]
	v_pk_add_f32 v[8:9], v[20:21], v[16:17] op_sel:[0,1] op_sel_hi:[1,0] neg_lo:[0,1] neg_hi:[0,1]
	v_pk_add_f32 v[6:7], v[6:7], v[16:17] op_sel:[0,1] op_sel_hi:[1,0]
	v_mov_b32_e32 v16, v8
	v_mov_b32_e32 v17, v7
	v_pk_mul_f32 v[22:23], v[26:27], s[16:17] op_sel_hi:[0,1]
	v_mov_b32_e32 v7, v9
	v_pk_fma_f32 v[16:17], v[4:5], s[10:11], v[16:17] op_sel_hi:[1,0,1]
	v_pk_fma_f32 v[22:23], v[30:31], s[20:21], v[22:23] op_sel_hi:[0,1,1] neg_lo:[0,0,1] neg_hi:[0,0,1]
	v_pk_fma_f32 v[4:5], v[4:5], s[10:11], v[6:7] op_sel_hi:[1,0,1]
	v_pk_add_f32 v[20:21], v[16:17], v[10:11]
	v_pk_add_f32 v[6:7], v[4:5], v[22:23]
	ds_write2_b64 v15, v[20:21], v[6:7] offset0:80 offset1:116
	v_pk_mul_f32 v[6:7], v[14:15], s[14:15] op_sel_hi:[0,1]
	v_mov_b32_e32 v25, v35
	v_pk_fma_f32 v[2:3], v[2:3], s[22:23], v[6:7] op_sel_hi:[0,1,1] neg_lo:[0,0,1] neg_hi:[0,0,1]
	v_pk_fma_f32 v[6:7], v[40:41], s[10:11], v[24:25] op_sel_hi:[1,0,1]
	v_pk_add_f32 v[12:13], v[18:19], v[12:13] neg_lo:[0,1] neg_hi:[0,1]
	v_pk_add_f32 v[8:9], v[6:7], v[2:3]
	ds_write2_b64 v15, v[8:9], v[12:13] offset0:152 offset1:188
	v_pk_add_f32 v[8:9], v[38:39], v[42:43] neg_lo:[0,1] neg_hi:[0,1]
	v_pk_add_f32 v[10:11], v[16:17], v[10:11] neg_lo:[0,1] neg_hi:[0,1]
	v_add_u32_e32 v12, 0x3c00, v68
	v_pk_add_f32 v[4:5], v[4:5], v[22:23] neg_lo:[0,1] neg_hi:[0,1]
	v_pk_add_f32 v[2:3], v[6:7], v[2:3] neg_lo:[0,1] neg_hi:[0,1]
	v_add_u32_e32 v6, 0x4000, v68
	ds_write2_b64 v12, v[8:9], v[10:11] offset0:96 offset1:132
	ds_write2_b64 v6, v[4:5], v[2:3] offset0:40 offset1:76
.LBB0_34:
	s_or_b64 exec, exec, s[18:19]
	v_mul_lo_u16_e32 v2, 13, v55
	v_lshrrev_b16_e32 v42, 9, v2
	v_mul_lo_u16_e32 v2, 0x67, v57
	v_lshrrev_b16_e32 v43, 12, v2
	v_mul_lo_u16_e32 v2, 40, v43
	v_sub_u16_e32 v2, v57, v2
	v_and_b32_e32 v44, 0xff, v2
	v_mul_lo_u16_e32 v2, 0x67, v65
	v_lshrrev_b16_e32 v45, 12, v2
	v_mul_lo_u16_e32 v10, 40, v42
	v_mul_lo_u16_e32 v2, 40, v45
	v_sub_u16_e32 v2, v65, v2
	v_sub_u16_e32 v10, v55, v10
	v_and_b32_e32 v46, 0xff, v2
	v_and_b32_e32 v47, 0xff, v10
	v_lshlrev_b32_e32 v11, 4, v44
	v_lshlrev_b32_e32 v12, 4, v46
	;; [unrolled: 1-line block ×4, first 2 shown]
	s_waitcnt lgkmcnt(0)
	s_barrier
	global_load_dwordx4 v[2:5], v11, s[2:3] offset:304
	global_load_dwordx4 v[6:9], v12, s[2:3] offset:304
	v_add_u32_e32 v18, 0x2600, v68
	global_load_dwordx4 v[10:13], v10, s[2:3] offset:304
	v_add_u32_e32 v22, 0x1c00, v68
	;; [unrolled: 2-line block ×3, first 2 shown]
	ds_read_b64 v[30:31], v71
	ds_read_b64 v[32:33], v1
	ds_read_b64 v[34:35], v70
	ds_read_b64 v[36:37], v69
	ds_read_b64 v[38:39], v68 offset:15840
	ds_read_b64 v[40:41], v68
	ds_read2_b64 v[18:21], v18 offset0:44 offset1:224
	ds_read2_b64 v[22:25], v22 offset0:4 offset1:184
	;; [unrolled: 1-line block ×3, first 2 shown]
	s_movk_i32 s10, 0x78
	v_mad_u32_u24 v42, v42, s10, v47
	v_mad_u32_u24 v43, v43, s10, v44
	;; [unrolled: 1-line block ×3, first 2 shown]
	v_mul_u32_u24_e32 v48, 0x48, v64
	v_mul_u32_u24_e32 v42, 0x48, v42
	;; [unrolled: 1-line block ×4, first 2 shown]
	v_add3_u32 v49, 0, v48, v73
	v_add3_u32 v74, 0, v42, v73
	;; [unrolled: 1-line block ×4, first 2 shown]
	s_waitcnt lgkmcnt(0)
	s_barrier
	s_mov_b32 s10, 0x3f5db3d7
	s_waitcnt vmcnt(3)
	v_pk_mul_f32 v[46:47], v[2:3], v[24:25] op_sel:[0,1]
	s_waitcnt vmcnt(2)
	v_pk_mul_f32 v[42:43], v[18:19], v[6:7] op_sel:[0,1]
	v_mov_b32_e32 v44, v9
	s_waitcnt vmcnt(1)
	v_pk_mul_f32 v[50:51], v[10:11], v[22:23] op_sel:[0,1]
	v_pk_mul_f32 v[52:53], v[12:13], v[26:27] op_sel:[0,1]
	s_waitcnt vmcnt(0)
	v_pk_mul_f32 v[58:59], v[14:15], v[30:31] op_sel:[0,1]
	v_pk_mul_f32 v[60:61], v[16:17], v[20:21] op_sel:[0,1]
	v_pk_fma_f32 v[62:63], v[18:19], v[6:7], v[42:43] op_sel:[0,0,1] op_sel_hi:[1,1,0]
	v_pk_fma_f32 v[6:7], v[18:19], v[6:7], v[42:43] op_sel:[0,0,1] op_sel_hi:[1,0,0] neg_lo:[0,0,1] neg_hi:[0,0,1]
	v_pk_mul_f32 v[18:19], v[38:39], v[44:45] op_sel_hi:[1,0]
	v_pk_fma_f32 v[44:45], v[10:11], v[22:23], v[50:51] op_sel:[0,0,1] op_sel_hi:[1,1,0]
	v_pk_fma_f32 v[10:11], v[10:11], v[22:23], v[50:51] op_sel:[0,0,1] op_sel_hi:[1,0,0] neg_lo:[1,0,0] neg_hi:[1,0,0]
	v_pk_fma_f32 v[22:23], v[12:13], v[26:27], v[52:53] op_sel:[0,0,1] op_sel_hi:[1,1,0]
	v_pk_fma_f32 v[12:13], v[12:13], v[26:27], v[52:53] op_sel:[0,0,1] op_sel_hi:[1,0,0] neg_lo:[1,0,0] neg_hi:[1,0,0]
	;; [unrolled: 2-line block ×4, first 2 shown]
	v_mov_b32_e32 v27, v15
	v_mov_b32_e32 v23, v13
	v_mov_b32_e32 v31, v17
	v_pk_add_f32 v[12:13], v[40:41], v[26:27]
	v_pk_add_f32 v[14:15], v[26:27], v[30:31] neg_lo:[0,1] neg_hi:[0,1]
	v_pk_add_f32 v[12:13], v[12:13], v[30:31]
	ds_write_b64 v49, v[12:13]
	v_pk_add_f32 v[12:13], v[26:27], v[30:31]
	v_mov_b32_e32 v45, v11
	v_pk_fma_f32 v[12:13], v[12:13], 0.5, v[40:41] op_sel_hi:[1,0,1] neg_lo:[1,0,0] neg_hi:[1,0,0]
	v_pk_mul_f32 v[14:15], v[14:15], s[10:11] op_sel_hi:[1,0]
	v_pk_add_f32 v[10:11], v[36:37], v[44:45]
	v_pk_add_f32 v[16:17], v[12:13], v[14:15] op_sel:[0,1] op_sel_hi:[1,0] neg_lo:[0,1] neg_hi:[0,1]
	v_pk_add_f32 v[12:13], v[12:13], v[14:15] op_sel:[0,1] op_sel_hi:[1,0]
	v_mov_b32_e32 v48, v5
	v_pk_add_f32 v[10:11], v[10:11], v[22:23]
	v_mov_b32_e32 v14, v16
	v_mov_b32_e32 v15, v13
	;; [unrolled: 1-line block ×3, first 2 shown]
	v_pk_fma_f32 v[42:43], v[2:3], v[24:25], v[46:47] op_sel:[0,0,1] op_sel_hi:[1,1,0]
	v_pk_fma_f32 v[2:3], v[2:3], v[24:25], v[46:47] op_sel:[0,0,1] op_sel_hi:[1,0,0] neg_lo:[1,0,0] neg_hi:[1,0,0]
	v_pk_mul_f32 v[24:25], v[28:29], v[48:49] op_sel_hi:[1,0]
	ds_write_b64 v49, v[14:15] offset:2880
	ds_write_b64 v49, v[12:13] offset:5760
	ds_write_b64 v74, v[10:11]
	v_pk_add_f32 v[10:11], v[44:45], v[22:23]
	v_pk_add_f32 v[12:13], v[44:45], v[22:23] neg_lo:[0,1] neg_hi:[0,1]
	v_mov_b32_e32 v43, v3
	v_pk_fma_f32 v[2:3], v[28:29], v[4:5], v[24:25] op_sel:[0,0,1] op_sel_hi:[1,1,0]
	v_pk_fma_f32 v[4:5], v[28:29], v[4:5], v[24:25] op_sel:[0,0,1] op_sel_hi:[1,0,0] neg_lo:[0,0,1] neg_hi:[0,0,1]
	v_pk_fma_f32 v[10:11], v[10:11], 0.5, v[36:37] op_sel_hi:[1,0,1] neg_lo:[1,0,0] neg_hi:[1,0,0]
	v_pk_mul_f32 v[12:13], v[12:13], s[10:11] op_sel_hi:[1,0]
	v_mov_b32_e32 v3, v5
	v_pk_add_f32 v[4:5], v[34:35], v[42:43]
	v_pk_add_f32 v[14:15], v[10:11], v[12:13] op_sel:[0,1] op_sel_hi:[1,0] neg_lo:[0,1] neg_hi:[0,1]
	v_pk_add_f32 v[10:11], v[10:11], v[12:13] op_sel:[0,1] op_sel_hi:[1,0]
	v_pk_add_f32 v[4:5], v[4:5], v[2:3]
	v_mov_b32_e32 v12, v14
	v_mov_b32_e32 v13, v11
	;; [unrolled: 1-line block ×3, first 2 shown]
	ds_write_b64 v74, v[12:13] offset:2880
	ds_write_b64 v74, v[10:11] offset:5760
	ds_write_b64 v75, v[4:5]
	v_pk_add_f32 v[4:5], v[42:43], v[2:3]
	v_pk_add_f32 v[2:3], v[42:43], v[2:3] neg_lo:[0,1] neg_hi:[0,1]
	v_pk_fma_f32 v[4:5], v[4:5], 0.5, v[34:35] op_sel_hi:[1,0,1] neg_lo:[1,0,0] neg_hi:[1,0,0]
	v_pk_mul_f32 v[2:3], v[2:3], s[10:11] op_sel_hi:[1,0]
	v_mov_b32_e32 v63, v7
	v_pk_fma_f32 v[6:7], v[38:39], v[8:9], v[18:19] op_sel:[0,0,1] op_sel_hi:[1,1,0]
	v_pk_fma_f32 v[8:9], v[38:39], v[8:9], v[18:19] op_sel:[0,0,1] op_sel_hi:[1,0,0] neg_lo:[0,0,1] neg_hi:[0,0,1]
	v_pk_add_f32 v[10:11], v[4:5], v[2:3] op_sel:[0,1] op_sel_hi:[1,0] neg_lo:[0,1] neg_hi:[0,1]
	v_pk_add_f32 v[2:3], v[4:5], v[2:3] op_sel:[0,1] op_sel_hi:[1,0]
	v_mov_b32_e32 v7, v9
	v_pk_add_f32 v[8:9], v[32:33], v[62:63]
	v_mov_b32_e32 v4, v10
	v_mov_b32_e32 v5, v3
	;; [unrolled: 1-line block ×3, first 2 shown]
	v_pk_add_f32 v[8:9], v[8:9], v[6:7]
	ds_write_b64 v75, v[4:5] offset:2880
	ds_write_b64 v75, v[2:3] offset:5760
	ds_write_b64 v73, v[8:9]
	v_pk_add_f32 v[2:3], v[62:63], v[6:7]
	v_pk_add_f32 v[4:5], v[62:63], v[6:7] neg_lo:[0,1] neg_hi:[0,1]
	v_pk_fma_f32 v[2:3], v[2:3], 0.5, v[32:33] op_sel_hi:[1,0,1] neg_lo:[1,0,0] neg_hi:[1,0,0]
	v_pk_mul_f32 v[4:5], v[4:5], s[10:11] op_sel_hi:[1,0]
	s_nop 0
	v_pk_add_f32 v[6:7], v[2:3], v[4:5] op_sel:[0,1] op_sel_hi:[1,0] neg_lo:[0,1] neg_hi:[0,1]
	v_pk_add_f32 v[2:3], v[2:3], v[4:5] op_sel:[0,1] op_sel_hi:[1,0]
	v_mov_b32_e32 v4, v6
	v_mov_b32_e32 v5, v3
	v_mov_b32_e32 v3, v7
	ds_write_b64 v73, v[4:5] offset:2880
	ds_write_b64 v73, v[2:3] offset:5760
	s_waitcnt lgkmcnt(0)
	s_barrier
	s_and_saveexec_b64 s[10:11], s[6:7]
	s_cbranch_execz .LBB0_36
; %bb.35:
	s_movk_i32 s6, 0xb4
	v_subrev_u32_e32 v2, 20, v64
	v_cmp_gt_u32_e32 vcc, s6, v0
	s_load_dwordx2 s[0:1], s[0:1], 0x8
	v_mov_b32_e32 v3, 0
	v_cndmask_b32_e32 v2, v2, v67, vcc
	v_lshl_add_u64 v[4:5], v[2:3], 3, s[2:3]
	global_load_dwordx2 v[6:7], v[4:5], off offset:944
	v_add_u32_e32 v4, 0x78, v2
	v_mul_lo_u32 v4, v56, v4
	v_mov_b32_e32 v26, 3
	v_mul_lo_u32 v10, v56, v2
	v_lshlrev_b32_sdwa v5, v26, v4 dst_sel:DWORD dst_unused:UNUSED_PAD src0_sel:DWORD src1_sel:BYTE_0
	v_lshlrev_b32_sdwa v11, v26, v10 dst_sel:DWORD dst_unused:UNUSED_PAD src0_sel:DWORD src1_sel:BYTE_0
	v_lshlrev_b32_sdwa v14, v26, v10 dst_sel:DWORD dst_unused:UNUSED_PAD src0_sel:DWORD src1_sel:BYTE_1
	s_waitcnt lgkmcnt(0)
	global_load_dwordx2 v[8:9], v11, s[0:1]
	global_load_dwordx2 v[12:13], v14, s[0:1] offset:2048
	v_lshlrev_b32_sdwa v11, v26, v4 dst_sel:DWORD dst_unused:UNUSED_PAD src0_sel:DWORD src1_sel:BYTE_1
	global_load_dwordx2 v[18:19], v5, s[0:1]
	global_load_dwordx2 v[20:21], v11, s[0:1] offset:2048
	v_bfe_u32 v4, v4, 16, 8
	v_mov_b32_e32 v82, 0x1000
	v_lshl_or_b32 v4, v4, 3, v82
	global_load_dwordx2 v[22:23], v4, s[0:1]
	v_bfe_u32 v4, v10, 16, 8
	v_lshl_or_b32 v4, v4, 3, v82
	global_load_dwordx2 v[24:25], v4, s[0:1]
	s_movk_i32 s6, 0x168
	v_subrev_u32_e32 v4, 40, v64
	v_cmp_gt_u32_e32 vcc, s6, v0
	v_mov_b32_e32 v5, v3
	s_movk_i32 s6, 0x21c
	v_cndmask_b32_e32 v4, v4, v66, vcc
	v_lshl_add_u64 v[10:11], v[4:5], 3, s[2:3]
	v_add_u32_e32 v5, 0x78, v4
	v_mul_lo_u32 v5, v56, v5
	global_load_dwordx2 v[28:29], v[10:11], off offset:944
	v_lshlrev_b32_sdwa v10, v26, v5 dst_sel:DWORD dst_unused:UNUSED_PAD src0_sel:DWORD src1_sel:BYTE_0
	v_lshlrev_b32_sdwa v11, v26, v5 dst_sel:DWORD dst_unused:UNUSED_PAD src0_sel:DWORD src1_sel:BYTE_1
	global_load_dwordx2 v[30:31], v10, s[0:1]
	global_load_dwordx2 v[32:33], v11, s[0:1] offset:2048
	v_bfe_u32 v5, v5, 16, 8
	v_lshl_or_b32 v5, v5, 3, v82
	global_load_dwordx2 v[34:35], v5, s[0:1]
	v_mul_lo_u32 v10, v56, v4
	v_lshlrev_b32_sdwa v11, v26, v10 dst_sel:DWORD dst_unused:UNUSED_PAD src0_sel:DWORD src1_sel:BYTE_0
	v_lshlrev_b32_sdwa v14, v26, v10 dst_sel:DWORD dst_unused:UNUSED_PAD src0_sel:DWORD src1_sel:BYTE_1
	global_load_dwordx2 v[36:37], v11, s[0:1]
	global_load_dwordx2 v[38:39], v14, s[0:1] offset:2048
	v_bfe_u32 v10, v10, 16, 8
	v_lshl_or_b32 v10, v10, 3, v82
	global_load_dwordx2 v[40:41], v10, s[0:1]
	v_subrev_u32_e32 v10, 60, v64
	v_cmp_gt_u32_e32 vcc, s6, v0
	v_mov_b32_e32 v11, v3
	ds_read_b64 v[42:43], v72
	ds_read_b32 v27, v72
	v_cndmask_b32_e32 v10, v10, v65, vcc
	v_lshl_add_u64 v[44:45], v[10:11], 3, s[2:3]
	global_load_dwordx2 v[44:45], v[44:45], off offset:944
	v_add_u32_e32 v5, 0x3800, v68
	ds_read2_b64 v[14:17], v5 offset0:8 offset1:188
	v_add_u32_e32 v5, 0x78, v10
	v_mul_lo_u32 v5, v56, v5
	v_bfe_u32 v11, v5, 16, 8
	v_lshlrev_b32_sdwa v52, v26, v5 dst_sel:DWORD dst_unused:UNUSED_PAD src0_sel:DWORD src1_sel:BYTE_0
	v_lshl_or_b32 v11, v11, 3, v82
	v_lshlrev_b32_sdwa v5, v26, v5 dst_sel:DWORD dst_unused:UNUSED_PAD src0_sel:DWORD src1_sel:BYTE_1
	global_load_dwordx2 v[46:47], v11, s[0:1]
	global_load_dwordx2 v[48:49], v52, s[0:1]
	global_load_dwordx2 v[50:51], v5, s[0:1] offset:2048
	s_movk_i32 s6, 0x2d0
	v_cmp_gt_u32_e32 vcc, s6, v0
	s_movk_i32 s6, 0x384
	s_waitcnt vmcnt(17) lgkmcnt(0)
	v_pk_mul_f32 v[52:53], v[16:17], v[6:7] op_sel:[0,1]
	s_nop 0
	v_pk_fma_f32 v[58:59], v[16:17], v[6:7], v[52:53] op_sel:[0,0,1] op_sel_hi:[1,1,0]
	v_pk_fma_f32 v[6:7], v[16:17], v[6:7], v[52:53] op_sel:[0,0,1] op_sel_hi:[1,0,0] neg_lo:[0,0,1] neg_hi:[0,0,1]
	s_waitcnt vmcnt(15)
	v_mul_f32_e32 v5, v9, v13
	v_mul_f32_e32 v11, v8, v13
	s_waitcnt vmcnt(13)
	v_mul_f32_e32 v13, v18, v20
	v_mov_b32_e32 v59, v7
	v_pk_mul_f32 v[6:7], v[18:19], v[20:21] op_sel:[1,0] op_sel_hi:[0,1]
	v_fma_f32 v5, v8, v12, -v5
	v_fma_f32 v8, -v19, v21, v13
	v_add_f32_e32 v7, v6, v7
	s_waitcnt vmcnt(12)
	v_mul_f32_e32 v6, v8, v23
	v_pk_add_f32 v[16:17], v[42:43], v[58:59] neg_lo:[0,1] neg_hi:[0,1]
	v_fmac_f32_e32 v11, v9, v12
	v_mul_f32_e32 v9, v7, v23
	v_fmac_f32_e32 v6, v22, v7
	v_fma_f32 v8, v22, v8, -v9
	v_pk_mul_f32 v[12:13], v[16:17], v[6:7] op_sel_hi:[1,0]
	v_fma_f32 v18, v43, 2.0, -v17
	v_pk_fma_f32 v[6:7], v[16:17], v[8:9], v[12:13] op_sel:[0,0,1] op_sel_hi:[1,1,0]
	v_pk_fma_f32 v[8:9], v[16:17], v[8:9], v[12:13] op_sel:[0,0,1] op_sel_hi:[1,0,0] neg_lo:[0,0,1] neg_hi:[0,0,1]
	s_waitcnt vmcnt(11)
	v_mul_f32_e32 v7, v11, v25
	v_fma_f32 v7, v24, v5, -v7
	v_mul_f32_e32 v5, v5, v25
	v_fma_f32 v8, v27, 2.0, -v16
	v_fmac_f32_e32 v5, v24, v11
	v_mul_f32_e32 v11, v8, v5
	v_mul_f32_e32 v12, v18, v5
	v_mul_lo_u32 v5, v56, v10
	v_fma_f32 v13, v18, v7, -v11
	v_fmac_f32_e32 v12, v8, v7
	v_lshlrev_b32_sdwa v7, v26, v5 dst_sel:DWORD dst_unused:UNUSED_PAD src0_sel:DWORD src1_sel:BYTE_0
	v_lshlrev_b32_sdwa v8, v26, v5 dst_sel:DWORD dst_unused:UNUSED_PAD src0_sel:DWORD src1_sel:BYTE_1
	global_load_dwordx2 v[42:43], v7, s[0:1]
	global_load_dwordx2 v[52:53], v8, s[0:1] offset:2048
	ds_read_b64 v[18:19], v71
	ds_read_b32 v7, v71
	s_waitcnt vmcnt(12)
	v_pk_mul_f32 v[16:17], v[28:29], v[14:15] op_sel:[0,1]
	s_waitcnt vmcnt(10)
	v_mul_f32_e32 v8, v30, v32
	v_pk_fma_f32 v[20:21], v[28:29], v[14:15], v[16:17] op_sel:[0,0,1] op_sel_hi:[1,1,0]
	v_pk_fma_f32 v[14:15], v[28:29], v[14:15], v[16:17] op_sel:[0,0,1] op_sel_hi:[1,0,0] neg_lo:[1,0,0] neg_hi:[1,0,0]
	v_fma_f32 v11, -v31, v33, v8
	v_mov_b32_e32 v21, v15
	v_pk_mul_f32 v[14:15], v[30:31], v[32:33] op_sel:[1,0] op_sel_hi:[0,1]
	v_add_f32_e32 v15, v14, v15
	s_waitcnt vmcnt(9)
	v_mul_f32_e32 v14, v11, v35
	s_waitcnt lgkmcnt(1)
	v_pk_add_f32 v[20:21], v[18:19], v[20:21] neg_lo:[0,1] neg_hi:[0,1]
	v_mul_f32_e32 v8, v15, v35
	v_fmac_f32_e32 v14, v34, v15
	v_bfe_u32 v5, v5, 16, 8
	v_fma_f32 v8, v34, v11, -v8
	v_pk_mul_f32 v[16:17], v[20:21], v[14:15] op_sel_hi:[1,0]
	v_lshl_or_b32 v5, v5, 3, v82
	s_waitcnt vmcnt(7)
	v_mul_f32_e32 v11, v36, v39
	v_pk_fma_f32 v[14:15], v[20:21], v[8:9], v[16:17] op_sel:[0,0,1] op_sel_hi:[1,1,0]
	global_load_dwordx2 v[32:33], v5, s[0:1]
	v_mul_f32_e32 v5, v37, v39
	v_fmac_f32_e32 v11, v37, v38
	v_fma_f32 v5, v36, v38, -v5
	s_waitcnt vmcnt(7)
	v_mul_f32_e32 v15, v11, v41
	v_fma_f32 v15, v40, v5, -v15
	v_mul_f32_e32 v5, v5, v41
	v_fmac_f32_e32 v5, v40, v11
	v_add_u32_e32 v11, 0x2c00, v68
	ds_read2_b64 v[28:31], v11 offset0:32 offset1:212
	v_pk_fma_f32 v[16:17], v[20:21], v[8:9], v[16:17] op_sel:[0,0,1] op_sel_hi:[1,0,0] neg_lo:[0,0,1] neg_hi:[0,0,1]
	v_fma_f32 v8, v19, 2.0, -v21
	s_waitcnt lgkmcnt(1)
	v_fma_f32 v7, v7, 2.0, -v20
	v_mul_f32_e32 v11, v7, v5
	v_mul_f32_e32 v18, v8, v5
	s_waitcnt vmcnt(6) lgkmcnt(0)
	v_pk_mul_f32 v[20:21], v[44:45], v[30:31] op_sel:[0,1]
	v_add_u32_e32 v5, 0xffffffb0, v64
	v_pk_fma_f32 v[22:23], v[44:45], v[30:31], v[20:21] op_sel:[0,0,1] op_sel_hi:[1,1,0]
	v_pk_fma_f32 v[24:25], v[44:45], v[30:31], v[20:21] op_sel:[0,0,1] op_sel_hi:[1,0,0] neg_lo:[1,0,0] neg_hi:[1,0,0]
	v_cndmask_b32_e32 v20, v5, v57, vcc
	v_fma_f32 v19, v8, v15, -v11
	v_add_u32_e32 v8, 0x78, v20
	v_mov_b32_e32 v21, v3
	v_mul_lo_u32 v8, v56, v8
	v_lshl_add_u64 v[30:31], v[20:21], 3, s[2:3]
	v_bfe_u32 v11, v8, 16, 8
	global_load_dwordx2 v[30:31], v[30:31], off offset:944
	v_lshl_or_b32 v11, v11, 3, v82
	v_fmac_f32_e32 v18, v7, v15
	ds_read_b64 v[34:35], v1
	ds_read_b32 v5, v1
	ds_read_b32 v7, v70
	v_lshlrev_b32_sdwa v15, v26, v8 dst_sel:DWORD dst_unused:UNUSED_PAD src0_sel:DWORD src1_sel:BYTE_0
	v_lshlrev_b32_sdwa v8, v26, v8 dst_sel:DWORD dst_unused:UNUSED_PAD src0_sel:DWORD src1_sel:BYTE_1
	global_load_dwordx2 v[38:39], v11, s[0:1]
	global_load_dwordx2 v[40:41], v15, s[0:1]
	global_load_dwordx2 v[44:45], v8, s[0:1] offset:2048
	v_mov_b32_e32 v23, v25
	s_waitcnt vmcnt(7)
	v_mul_f32_e32 v1, v48, v50
	s_waitcnt lgkmcnt(2)
	v_pk_add_f32 v[36:37], v[34:35], v[22:23] neg_lo:[0,1] neg_hi:[0,1]
	v_fma_f32 v1, -v49, v51, v1
	v_pk_mul_f32 v[22:23], v[48:49], v[50:51] op_sel:[1,0] op_sel_hi:[0,1]
	v_add_f32_e32 v11, v22, v23
	v_mul_f32_e32 v16, v1, v47
	v_mul_f32_e32 v8, v11, v47
	v_fmac_f32_e32 v16, v46, v11
	v_fma_f32 v8, v46, v1, -v8
	v_pk_mul_f32 v[24:25], v[36:37], v[16:17] op_sel_hi:[1,0]
	v_mul_lo_u32 v1, v56, v20
	v_pk_fma_f32 v[22:23], v[36:37], v[8:9], v[24:25] op_sel:[0,0,1] op_sel_hi:[1,1,0]
	v_pk_fma_f32 v[24:25], v[36:37], v[8:9], v[24:25] op_sel:[0,0,1] op_sel_hi:[1,0,0] neg_lo:[0,0,1] neg_hi:[0,0,1]
	v_lshlrev_b32_sdwa v8, v26, v1 dst_sel:DWORD dst_unused:UNUSED_PAD src0_sel:DWORD src1_sel:BYTE_0
	v_lshlrev_b32_sdwa v11, v26, v1 dst_sel:DWORD dst_unused:UNUSED_PAD src0_sel:DWORD src1_sel:BYTE_1
	global_load_dwordx2 v[46:47], v8, s[0:1]
	global_load_dwordx2 v[48:49], v11, s[0:1] offset:2048
	v_bfe_u32 v1, v1, 16, 8
	v_lshl_or_b32 v1, v1, 3, v82
	v_fma_f32 v8, v35, 2.0, -v37
	global_load_dwordx2 v[34:35], v1, s[0:1]
	v_cmp_gt_u32_e32 vcc, s6, v0
	s_waitcnt lgkmcnt(1)
	v_fma_f32 v5, v5, 2.0, -v36
	s_waitcnt vmcnt(8)
	v_mul_f32_e32 v1, v43, v53
	v_fma_f32 v11, v42, v52, -v1
	v_add_u32_e32 v1, 0xffffff9c, v64
	v_cndmask_b32_e32 v0, v1, v55, vcc
	v_mov_b32_e32 v1, v3
	v_lshl_add_u64 v[50:51], v[0:1], 3, s[2:3]
	v_add_u32_e32 v1, 0x78, v0
	v_mul_lo_u32 v1, v56, v1
	v_bfe_u32 v15, v1, 16, 8
	v_lshl_or_b32 v15, v15, 3, v82
	v_lshlrev_b32_sdwa v16, v26, v1 dst_sel:DWORD dst_unused:UNUSED_PAD src0_sel:DWORD src1_sel:BYTE_0
	v_lshlrev_b32_sdwa v1, v26, v1 dst_sel:DWORD dst_unused:UNUSED_PAD src0_sel:DWORD src1_sel:BYTE_1
	global_load_dwordx2 v[50:51], v[50:51], off offset:944
	s_nop 0
	global_load_dwordx2 v[58:59], v15, s[0:1]
	global_load_dwordx2 v[60:61], v16, s[0:1]
	global_load_dwordx2 v[62:63], v1, s[0:1] offset:2048
	v_mul_f32_e32 v1, v42, v53
	v_fmac_f32_e32 v1, v43, v52
	s_waitcnt vmcnt(11)
	v_mul_f32_e32 v15, v1, v33
	v_fma_f32 v15, v32, v11, -v15
	v_mul_f32_e32 v11, v11, v33
	v_fmac_f32_e32 v11, v32, v1
	v_mul_lo_u32 v1, v56, v0
	v_lshlrev_b32_sdwa v16, v26, v1 dst_sel:DWORD dst_unused:UNUSED_PAD src0_sel:DWORD src1_sel:BYTE_0
	v_lshlrev_b32_sdwa v21, v26, v1 dst_sel:DWORD dst_unused:UNUSED_PAD src0_sel:DWORD src1_sel:BYTE_1
	global_load_dwordx2 v[32:33], v16, s[0:1]
	global_load_dwordx2 v[36:37], v21, s[0:1] offset:2048
	v_bfe_u32 v1, v1, 16, 8
	v_lshl_or_b32 v1, v1, 3, v82
	global_load_dwordx2 v[42:43], v1, s[0:1]
	v_add_u32_e32 v1, 0x78, v64
	v_mul_lo_u32 v21, v56, v1
	v_mul_f32_e32 v76, v8, v11
	v_mul_f32_e32 v16, v5, v11
	v_bfe_u32 v23, v21, 16, 8
	v_fmac_f32_e32 v76, v5, v15
	v_mul_lo_u32 v5, v56, v64
	v_lshl_or_b32 v23, v23, 3, v82
	v_fma_f32 v77, v8, v15, -v16
	v_lshlrev_b32_sdwa v8, v26, v5 dst_sel:DWORD dst_unused:UNUSED_PAD src0_sel:DWORD src1_sel:BYTE_0
	v_lshlrev_b32_sdwa v11, v26, v5 dst_sel:DWORD dst_unused:UNUSED_PAD src0_sel:DWORD src1_sel:BYTE_1
	v_bfe_u32 v5, v5, 16, 8
	v_lshlrev_b32_sdwa v24, v26, v21 dst_sel:DWORD dst_unused:UNUSED_PAD src0_sel:DWORD src1_sel:BYTE_0
	v_lshlrev_b32_sdwa v21, v26, v21 dst_sel:DWORD dst_unused:UNUSED_PAD src0_sel:DWORD src1_sel:BYTE_1
	global_load_dwordx2 v[52:53], v23, s[0:1]
	global_load_dwordx2 v[72:73], v24, s[0:1]
	global_load_dwordx2 v[74:75], v21, s[0:1] offset:2048
	s_waitcnt vmcnt(16)
	v_pk_mul_f32 v[78:79], v[30:31], v[28:29] op_sel:[0,1]
	v_lshl_or_b32 v5, v5, 3, v82
	v_pk_fma_f32 v[80:81], v[30:31], v[28:29], v[78:79] op_sel:[0,0,1] op_sel_hi:[1,1,0]
	v_pk_fma_f32 v[28:29], v[30:31], v[28:29], v[78:79] op_sel:[0,0,1] op_sel_hi:[1,0,0] neg_lo:[1,0,0] neg_hi:[1,0,0]
	global_load_dwordx2 v[30:31], v8, s[0:1]
	global_load_dwordx2 v[78:79], v11, s[0:1] offset:2048
	ds_read_b64 v[26:27], v70
	ds_read_b32 v11, v69
	global_load_dwordx2 v[70:71], v5, s[0:1]
	s_waitcnt vmcnt(16)
	v_mul_f32_e32 v5, v40, v44
	v_fma_f32 v5, -v41, v45, v5
	v_pk_mul_f32 v[40:41], v[40:41], v[44:45] op_sel:[1,0] op_sel_hi:[0,1]
	v_lshlrev_b32_e32 v16, 3, v64
	v_add_f32_e32 v15, v40, v41
	global_load_dwordx2 v[40:41], v16, s[2:3] offset:944
	v_mov_b32_e32 v81, v29
	v_mul_f32_e32 v16, v5, v39
	s_waitcnt lgkmcnt(1)
	v_pk_add_f32 v[28:29], v[26:27], v[80:81] neg_lo:[0,1] neg_hi:[0,1]
	v_mul_f32_e32 v8, v15, v39
	v_fmac_f32_e32 v16, v38, v15
	v_fma_f32 v8, v38, v5, -v8
	v_pk_mul_f32 v[38:39], v[28:29], v[16:17] op_sel_hi:[1,0]
	v_fma_f32 v5, v27, 2.0, -v29
	v_pk_fma_f32 v[44:45], v[28:29], v[8:9], v[38:39] op_sel:[0,0,1] op_sel_hi:[1,1,0]
	v_pk_fma_f32 v[38:39], v[28:29], v[8:9], v[38:39] op_sel:[0,0,1] op_sel_hi:[1,0,0] neg_lo:[0,0,1] neg_hi:[0,0,1]
	v_fma_f32 v7, v7, 2.0, -v28
	s_waitcnt vmcnt(15)
	v_mul_f32_e32 v15, v46, v49
	v_mul_f32_e32 v8, v47, v49
	v_fmac_f32_e32 v15, v47, v48
	v_fma_f32 v8, v46, v48, -v8
	s_waitcnt vmcnt(14)
	v_mul_f32_e32 v16, v15, v35
	v_fma_f32 v16, v34, v8, -v16
	v_mul_f32_e32 v8, v8, v35
	v_fmac_f32_e32 v8, v34, v15
	v_add_u32_e32 v15, 0x2000, v68
	ds_read2_b64 v[26:29], v15 offset0:56 offset1:236
	ds_read_b64 v[48:49], v69
	v_mul_f32_e32 v15, v7, v8
	v_fma_f32 v35, v5, v16, -v15
	v_mul_f32_e32 v34, v5, v8
	v_fmac_f32_e32 v34, v7, v16
	v_add_u32_e32 v24, s9, v54
	v_sub_u32_e32 v0, v55, v0
	v_mov_b32_e32 v45, v39
	v_mov_b32_e32 v23, v25
	s_waitcnt vmcnt(13) lgkmcnt(1)
	v_pk_mul_f32 v[46:47], v[50:51], v[28:29] op_sel:[0,1]
	s_waitcnt vmcnt(10)
	v_mul_f32_e32 v5, v60, v62
	v_pk_fma_f32 v[80:81], v[50:51], v[28:29], v[46:47] op_sel:[0,0,1] op_sel_hi:[1,1,0]
	v_pk_fma_f32 v[28:29], v[50:51], v[28:29], v[46:47] op_sel:[0,0,1] op_sel_hi:[1,0,0] neg_lo:[1,0,0] neg_hi:[1,0,0]
	v_fma_f32 v5, -v61, v63, v5
	v_pk_mul_f32 v[50:51], v[60:61], v[62:63] op_sel:[1,0] op_sel_hi:[0,1]
	v_mov_b32_e32 v81, v29
	ds_read_b64 v[28:29], v68
	v_add_f32_e32 v7, v50, v51
	v_mul_f32_e32 v16, v5, v59
	s_waitcnt lgkmcnt(1)
	v_pk_add_f32 v[46:47], v[48:49], v[80:81] neg_lo:[0,1] neg_hi:[0,1]
	v_mul_f32_e32 v8, v7, v59
	v_fmac_f32_e32 v16, v58, v7
	v_fma_f32 v8, v58, v5, -v8
	v_pk_mul_f32 v[50:51], v[46:47], v[16:17] op_sel_hi:[1,0]
	v_fma_f32 v11, v11, 2.0, -v46
	v_pk_fma_f32 v[58:59], v[46:47], v[8:9], v[50:51] op_sel:[0,0,1] op_sel_hi:[1,1,0]
	v_pk_fma_f32 v[50:51], v[46:47], v[8:9], v[50:51] op_sel:[0,0,1] op_sel_hi:[1,0,0] neg_lo:[0,0,1] neg_hi:[0,0,1]
	s_waitcnt vmcnt(8)
	v_mul_f32_e32 v8, v32, v37
	v_mul_f32_e32 v7, v33, v37
	v_fmac_f32_e32 v8, v33, v36
	v_fma_f32 v7, v32, v36, -v7
	s_waitcnt vmcnt(7)
	v_mul_f32_e32 v15, v8, v43
	v_fma_f32 v15, v42, v7, -v15
	v_mul_f32_e32 v7, v7, v43
	v_fmac_f32_e32 v7, v42, v8
	v_fma_f32 v5, v49, 2.0, -v47
	v_mul_f32_e32 v8, v11, v7
	v_fma_f32 v33, v5, v15, -v8
	v_mul_f32_e32 v32, v5, v7
	v_fmac_f32_e32 v32, v11, v15
	v_mov_b32_e32 v59, v51
	v_mov_b32_e32 v15, v17
	s_waitcnt vmcnt(4)
	v_mul_f32_e32 v5, v72, v74
	v_fma_f32 v5, -v73, v75, v5
	v_pk_mul_f32 v[36:37], v[72:73], v[74:75] op_sel:[1,0] op_sel_hi:[0,1]
	v_add_f32_e32 v7, v36, v37
	v_mul_f32_e32 v16, v5, v53
	v_mul_f32_e32 v8, v7, v53
	v_fmac_f32_e32 v16, v52, v7
	s_waitcnt vmcnt(2)
	v_mul_f32_e32 v7, v30, v79
	v_fma_f32 v8, v52, v5, -v8
	v_mul_f32_e32 v5, v31, v79
	v_fmac_f32_e32 v7, v78, v31
	v_fma_f32 v5, v30, v78, -v5
	s_waitcnt vmcnt(1)
	v_mul_f32_e32 v11, v71, v7
	s_waitcnt vmcnt(0)
	v_pk_mul_f32 v[42:43], v[40:41], v[26:27] op_sel:[0,1]
	v_fma_f32 v11, v70, v5, -v11
	v_pk_fma_f32 v[46:47], v[40:41], v[26:27], v[42:43] op_sel:[0,0,1] op_sel_hi:[1,1,0]
	v_pk_fma_f32 v[26:27], v[40:41], v[26:27], v[42:43] op_sel:[0,0,1] op_sel_hi:[1,0,0] neg_lo:[1,0,0] neg_hi:[1,0,0]
	v_mul_f32_e32 v5, v71, v5
	v_mov_b32_e32 v47, v27
	s_waitcnt lgkmcnt(0)
	v_pk_add_f32 v[26:27], v[28:29], v[46:47] neg_lo:[0,1] neg_hi:[0,1]
	v_fmac_f32_e32 v5, v70, v7
	v_mad_u64_u32 v[30:31], s[0:1], s8, v1, v[24:25]
	v_pk_mul_f32 v[40:41], v[26:27], v[16:17] op_sel_hi:[1,0]
	v_fma_f32 v1, v29, 2.0, -v27
	v_fma_f32 v7, v28, 2.0, -v26
	v_pk_fma_f32 v[42:43], v[26:27], v[8:9], v[40:41] op_sel:[0,0,1] op_sel_hi:[1,1,0]
	v_pk_fma_f32 v[40:41], v[26:27], v[8:9], v[40:41] op_sel:[0,0,1] op_sel_hi:[1,0,0] neg_lo:[0,0,1] neg_hi:[0,0,1]
	v_mul_f32_e32 v8, v7, v5
	v_mul_f32_e32 v26, v1, v5
	v_add_u32_e32 v5, v0, v55
	v_mad_u64_u32 v[36:37], s[0:1], s8, v64, v[24:25]
	v_fma_f32 v27, v1, v11, -v8
	v_mad_u64_u32 v[0:1], s[0:1], s8, v5, v[24:25]
	v_mov_b32_e32 v37, v3
	v_mov_b32_e32 v31, v3
	;; [unrolled: 1-line block ×3, first 2 shown]
	v_lshl_add_u64 v[36:37], v[36:37], 3, s[4:5]
	v_lshl_add_u64 v[30:31], v[30:31], 3, s[4:5]
	v_fmac_f32_e32 v26, v7, v11
	v_mov_b32_e32 v43, v41
	v_lshl_add_u64 v[0:1], v[0:1], 3, s[4:5]
	global_store_dwordx2 v[36:37], v[26:27], off
	global_store_dwordx2 v[30:31], v[42:43], off
	;; [unrolled: 1-line block ×3, first 2 shown]
	v_add_u32_e32 v0, 0x78, v5
	v_mad_u64_u32 v[0:1], s[0:1], s8, v0, v[24:25]
	v_mov_b32_e32 v1, v3
	v_lshl_add_u64 v[0:1], v[0:1], 3, s[4:5]
	global_store_dwordx2 v[0:1], v[58:59], off
	v_sub_u32_e32 v0, v57, v20
	v_add_u32_e32 v5, v0, v57
	v_mad_u64_u32 v[0:1], s[0:1], s8, v5, v[24:25]
	v_mov_b32_e32 v1, v3
	v_lshl_add_u64 v[0:1], v[0:1], 3, s[4:5]
	global_store_dwordx2 v[0:1], v[34:35], off
	v_add_u32_e32 v0, 0x78, v5
	v_mad_u64_u32 v[0:1], s[0:1], s8, v0, v[24:25]
	v_mov_b32_e32 v1, v3
	v_lshl_add_u64 v[0:1], v[0:1], 3, s[4:5]
	global_store_dwordx2 v[0:1], v[44:45], off
	v_sub_u32_e32 v0, v65, v10
	v_add_u32_e32 v5, v0, v65
	v_mad_u64_u32 v[0:1], s[0:1], s8, v5, v[24:25]
	v_mov_b32_e32 v1, v3
	v_lshl_add_u64 v[0:1], v[0:1], 3, s[4:5]
	global_store_dwordx2 v[0:1], v[76:77], off
	;; [unrolled: 11-line block ×4, first 2 shown]
	v_add_u32_e32 v0, 0x78, v2
	v_mad_u64_u32 v[0:1], s[0:1], s8, v0, v[24:25]
	v_mov_b32_e32 v1, v3
	v_lshl_add_u64 v[0:1], v[0:1], 3, s[4:5]
	v_mov_b32_e32 v7, v9
	global_store_dwordx2 v[0:1], v[6:7], off
.LBB0_36:
	s_endpgm
	.section	.rodata,"a",@progbits
	.p2align	6, 0x0
	.amdhsa_kernel fft_rtc_back_len240_factors_2_2_10_3_2_wgs_180_tpt_20_dim3_sp_ip_CI_sbcc_twdbase8_3step_dirReg_intrinsicReadWrite
		.amdhsa_group_segment_fixed_size 0
		.amdhsa_private_segment_fixed_size 0
		.amdhsa_kernarg_size 88
		.amdhsa_user_sgpr_count 2
		.amdhsa_user_sgpr_dispatch_ptr 0
		.amdhsa_user_sgpr_queue_ptr 0
		.amdhsa_user_sgpr_kernarg_segment_ptr 1
		.amdhsa_user_sgpr_dispatch_id 0
		.amdhsa_user_sgpr_kernarg_preload_length 0
		.amdhsa_user_sgpr_kernarg_preload_offset 0
		.amdhsa_user_sgpr_private_segment_size 0
		.amdhsa_uses_dynamic_stack 0
		.amdhsa_enable_private_segment 0
		.amdhsa_system_sgpr_workgroup_id_x 1
		.amdhsa_system_sgpr_workgroup_id_y 0
		.amdhsa_system_sgpr_workgroup_id_z 0
		.amdhsa_system_sgpr_workgroup_info 0
		.amdhsa_system_vgpr_workitem_id 0
		.amdhsa_next_free_vgpr 111
		.amdhsa_next_free_sgpr 30
		.amdhsa_accum_offset 112
		.amdhsa_reserve_vcc 1
		.amdhsa_float_round_mode_32 0
		.amdhsa_float_round_mode_16_64 0
		.amdhsa_float_denorm_mode_32 3
		.amdhsa_float_denorm_mode_16_64 3
		.amdhsa_dx10_clamp 1
		.amdhsa_ieee_mode 1
		.amdhsa_fp16_overflow 0
		.amdhsa_tg_split 0
		.amdhsa_exception_fp_ieee_invalid_op 0
		.amdhsa_exception_fp_denorm_src 0
		.amdhsa_exception_fp_ieee_div_zero 0
		.amdhsa_exception_fp_ieee_overflow 0
		.amdhsa_exception_fp_ieee_underflow 0
		.amdhsa_exception_fp_ieee_inexact 0
		.amdhsa_exception_int_div_zero 0
	.end_amdhsa_kernel
	.text
.Lfunc_end0:
	.size	fft_rtc_back_len240_factors_2_2_10_3_2_wgs_180_tpt_20_dim3_sp_ip_CI_sbcc_twdbase8_3step_dirReg_intrinsicReadWrite, .Lfunc_end0-fft_rtc_back_len240_factors_2_2_10_3_2_wgs_180_tpt_20_dim3_sp_ip_CI_sbcc_twdbase8_3step_dirReg_intrinsicReadWrite
                                        ; -- End function
	.section	.AMDGPU.csdata,"",@progbits
; Kernel info:
; codeLenInByte = 9104
; NumSgprs: 36
; NumVgprs: 111
; NumAgprs: 0
; TotalNumVgprs: 111
; ScratchSize: 0
; MemoryBound: 0
; FloatMode: 240
; IeeeMode: 1
; LDSByteSize: 0 bytes/workgroup (compile time only)
; SGPRBlocks: 4
; VGPRBlocks: 13
; NumSGPRsForWavesPerEU: 36
; NumVGPRsForWavesPerEU: 111
; AccumOffset: 112
; Occupancy: 4
; WaveLimiterHint : 1
; COMPUTE_PGM_RSRC2:SCRATCH_EN: 0
; COMPUTE_PGM_RSRC2:USER_SGPR: 2
; COMPUTE_PGM_RSRC2:TRAP_HANDLER: 0
; COMPUTE_PGM_RSRC2:TGID_X_EN: 1
; COMPUTE_PGM_RSRC2:TGID_Y_EN: 0
; COMPUTE_PGM_RSRC2:TGID_Z_EN: 0
; COMPUTE_PGM_RSRC2:TIDIG_COMP_CNT: 0
; COMPUTE_PGM_RSRC3_GFX90A:ACCUM_OFFSET: 27
; COMPUTE_PGM_RSRC3_GFX90A:TG_SPLIT: 0
	.text
	.p2alignl 6, 3212836864
	.fill 256, 4, 3212836864
	.type	__hip_cuid_327143989061efb7,@object ; @__hip_cuid_327143989061efb7
	.section	.bss,"aw",@nobits
	.globl	__hip_cuid_327143989061efb7
__hip_cuid_327143989061efb7:
	.byte	0                               ; 0x0
	.size	__hip_cuid_327143989061efb7, 1

	.ident	"AMD clang version 19.0.0git (https://github.com/RadeonOpenCompute/llvm-project roc-6.4.0 25133 c7fe45cf4b819c5991fe208aaa96edf142730f1d)"
	.section	".note.GNU-stack","",@progbits
	.addrsig
	.addrsig_sym __hip_cuid_327143989061efb7
	.amdgpu_metadata
---
amdhsa.kernels:
  - .agpr_count:     0
    .args:
      - .actual_access:  read_only
        .address_space:  global
        .offset:         0
        .size:           8
        .value_kind:     global_buffer
      - .address_space:  global
        .offset:         8
        .size:           8
        .value_kind:     global_buffer
      - .actual_access:  read_only
        .address_space:  global
        .offset:         16
        .size:           8
        .value_kind:     global_buffer
      - .actual_access:  read_only
        .address_space:  global
        .offset:         24
        .size:           8
        .value_kind:     global_buffer
      - .offset:         32
        .size:           8
        .value_kind:     by_value
      - .actual_access:  read_only
        .address_space:  global
        .offset:         40
        .size:           8
        .value_kind:     global_buffer
      - .actual_access:  read_only
        .address_space:  global
        .offset:         48
        .size:           8
        .value_kind:     global_buffer
      - .offset:         56
        .size:           4
        .value_kind:     by_value
      - .actual_access:  read_only
        .address_space:  global
        .offset:         64
        .size:           8
        .value_kind:     global_buffer
      - .actual_access:  read_only
        .address_space:  global
        .offset:         72
        .size:           8
        .value_kind:     global_buffer
      - .address_space:  global
        .offset:         80
        .size:           8
        .value_kind:     global_buffer
    .group_segment_fixed_size: 0
    .kernarg_segment_align: 8
    .kernarg_segment_size: 88
    .language:       OpenCL C
    .language_version:
      - 2
      - 0
    .max_flat_workgroup_size: 180
    .name:           fft_rtc_back_len240_factors_2_2_10_3_2_wgs_180_tpt_20_dim3_sp_ip_CI_sbcc_twdbase8_3step_dirReg_intrinsicReadWrite
    .private_segment_fixed_size: 0
    .sgpr_count:     36
    .sgpr_spill_count: 0
    .symbol:         fft_rtc_back_len240_factors_2_2_10_3_2_wgs_180_tpt_20_dim3_sp_ip_CI_sbcc_twdbase8_3step_dirReg_intrinsicReadWrite.kd
    .uniform_work_group_size: 1
    .uses_dynamic_stack: false
    .vgpr_count:     111
    .vgpr_spill_count: 0
    .wavefront_size: 64
amdhsa.target:   amdgcn-amd-amdhsa--gfx950
amdhsa.version:
  - 1
  - 2
...

	.end_amdgpu_metadata
